;; amdgpu-corpus repo=ROCm/rocFFT kind=compiled arch=gfx950 opt=O3
	.text
	.amdgcn_target "amdgcn-amd-amdhsa--gfx950"
	.amdhsa_code_object_version 6
	.protected	fft_rtc_fwd_len1734_factors_17_17_6_wgs_102_tpt_102_halfLds_half_ip_CI_sbrr_dirReg ; -- Begin function fft_rtc_fwd_len1734_factors_17_17_6_wgs_102_tpt_102_halfLds_half_ip_CI_sbrr_dirReg
	.globl	fft_rtc_fwd_len1734_factors_17_17_6_wgs_102_tpt_102_halfLds_half_ip_CI_sbrr_dirReg
	.p2align	8
	.type	fft_rtc_fwd_len1734_factors_17_17_6_wgs_102_tpt_102_halfLds_half_ip_CI_sbrr_dirReg,@function
fft_rtc_fwd_len1734_factors_17_17_6_wgs_102_tpt_102_halfLds_half_ip_CI_sbrr_dirReg: ; @fft_rtc_fwd_len1734_factors_17_17_6_wgs_102_tpt_102_halfLds_half_ip_CI_sbrr_dirReg
; %bb.0:
	s_load_dwordx2 s[12:13], s[0:1], 0x18
	s_load_dwordx4 s[4:7], s[0:1], 0x0
	s_load_dwordx2 s[10:11], s[0:1], 0x50
	v_mul_u32_u24_e32 v1, 0x283, v0
	v_add_u32_sdwa v6, s2, v1 dst_sel:DWORD dst_unused:UNUSED_PAD src0_sel:DWORD src1_sel:WORD_1
	s_waitcnt lgkmcnt(0)
	s_load_dwordx2 s[8:9], s[12:13], 0x0
	v_mov_b32_e32 v4, 0
	v_cmp_lt_u64_e64 s[2:3], s[6:7], 2
	v_mov_b32_e32 v7, v4
	s_and_b64 vcc, exec, s[2:3]
	v_mov_b64_e32 v[2:3], 0
	s_cbranch_vccnz .LBB0_8
; %bb.1:
	s_load_dwordx2 s[2:3], s[0:1], 0x10
	s_add_u32 s14, s12, 8
	s_addc_u32 s15, s13, 0
	s_mov_b64 s[16:17], 1
	v_mov_b64_e32 v[2:3], 0
	s_waitcnt lgkmcnt(0)
	s_add_u32 s18, s2, 8
	s_addc_u32 s19, s3, 0
.LBB0_2:                                ; =>This Inner Loop Header: Depth=1
	s_load_dwordx2 s[20:21], s[18:19], 0x0
                                        ; implicit-def: $vgpr8_vgpr9
	s_waitcnt lgkmcnt(0)
	v_or_b32_e32 v5, s21, v7
	v_cmp_ne_u64_e32 vcc, 0, v[4:5]
	s_and_saveexec_b64 s[2:3], vcc
	s_xor_b64 s[22:23], exec, s[2:3]
	s_cbranch_execz .LBB0_4
; %bb.3:                                ;   in Loop: Header=BB0_2 Depth=1
	v_cvt_f32_u32_e32 v1, s20
	v_cvt_f32_u32_e32 v5, s21
	s_sub_u32 s2, 0, s20
	s_subb_u32 s3, 0, s21
	v_fmac_f32_e32 v1, 0x4f800000, v5
	v_rcp_f32_e32 v1, v1
	s_nop 0
	v_mul_f32_e32 v1, 0x5f7ffffc, v1
	v_mul_f32_e32 v5, 0x2f800000, v1
	v_trunc_f32_e32 v5, v5
	v_fmac_f32_e32 v1, 0xcf800000, v5
	v_cvt_u32_f32_e32 v5, v5
	v_cvt_u32_f32_e32 v1, v1
	v_mul_lo_u32 v8, s2, v5
	v_mul_hi_u32 v10, s2, v1
	v_mul_lo_u32 v9, s3, v1
	v_add_u32_e32 v10, v10, v8
	v_mul_lo_u32 v12, s2, v1
	v_add_u32_e32 v13, v10, v9
	v_mul_hi_u32 v8, v1, v12
	v_mul_hi_u32 v11, v1, v13
	v_mul_lo_u32 v10, v1, v13
	v_mov_b32_e32 v9, v4
	v_lshl_add_u64 v[8:9], v[8:9], 0, v[10:11]
	v_mul_hi_u32 v11, v5, v12
	v_mul_lo_u32 v12, v5, v12
	v_add_co_u32_e32 v8, vcc, v8, v12
	v_mul_hi_u32 v10, v5, v13
	s_nop 0
	v_addc_co_u32_e32 v8, vcc, v9, v11, vcc
	v_mov_b32_e32 v9, v4
	s_nop 0
	v_addc_co_u32_e32 v11, vcc, 0, v10, vcc
	v_mul_lo_u32 v10, v5, v13
	v_lshl_add_u64 v[8:9], v[8:9], 0, v[10:11]
	v_add_co_u32_e32 v1, vcc, v1, v8
	v_mul_lo_u32 v10, s2, v1
	s_nop 0
	v_addc_co_u32_e32 v5, vcc, v5, v9, vcc
	v_mul_lo_u32 v8, s2, v5
	v_mul_hi_u32 v9, s2, v1
	v_add_u32_e32 v8, v9, v8
	v_mul_lo_u32 v9, s3, v1
	v_add_u32_e32 v12, v8, v9
	v_mul_hi_u32 v14, v5, v10
	v_mul_lo_u32 v15, v5, v10
	v_mul_hi_u32 v9, v1, v12
	v_mul_lo_u32 v8, v1, v12
	v_mul_hi_u32 v10, v1, v10
	v_mov_b32_e32 v11, v4
	v_lshl_add_u64 v[8:9], v[10:11], 0, v[8:9]
	v_add_co_u32_e32 v8, vcc, v8, v15
	v_mul_hi_u32 v13, v5, v12
	s_nop 0
	v_addc_co_u32_e32 v8, vcc, v9, v14, vcc
	v_mul_lo_u32 v10, v5, v12
	s_nop 0
	v_addc_co_u32_e32 v11, vcc, 0, v13, vcc
	v_mov_b32_e32 v9, v4
	v_lshl_add_u64 v[8:9], v[8:9], 0, v[10:11]
	v_add_co_u32_e32 v1, vcc, v1, v8
	v_mul_hi_u32 v10, v6, v1
	s_nop 0
	v_addc_co_u32_e32 v5, vcc, v5, v9, vcc
	v_mad_u64_u32 v[8:9], s[2:3], v6, v5, 0
	v_mov_b32_e32 v11, v4
	v_lshl_add_u64 v[8:9], v[10:11], 0, v[8:9]
	v_mad_u64_u32 v[12:13], s[2:3], v7, v1, 0
	v_add_co_u32_e32 v1, vcc, v8, v12
	v_mad_u64_u32 v[10:11], s[2:3], v7, v5, 0
	s_nop 0
	v_addc_co_u32_e32 v8, vcc, v9, v13, vcc
	v_mov_b32_e32 v9, v4
	s_nop 0
	v_addc_co_u32_e32 v11, vcc, 0, v11, vcc
	v_lshl_add_u64 v[8:9], v[8:9], 0, v[10:11]
	v_mul_lo_u32 v1, s21, v8
	v_mul_lo_u32 v5, s20, v9
	v_mad_u64_u32 v[10:11], s[2:3], s20, v8, 0
	v_add3_u32 v1, v11, v5, v1
	v_sub_u32_e32 v5, v7, v1
	v_mov_b32_e32 v11, s21
	v_sub_co_u32_e32 v14, vcc, v6, v10
	v_lshl_add_u64 v[12:13], v[8:9], 0, 1
	s_nop 0
	v_subb_co_u32_e64 v5, s[2:3], v5, v11, vcc
	v_subrev_co_u32_e64 v10, s[2:3], s20, v14
	v_subb_co_u32_e32 v1, vcc, v7, v1, vcc
	s_nop 0
	v_subbrev_co_u32_e64 v5, s[2:3], 0, v5, s[2:3]
	v_cmp_le_u32_e64 s[2:3], s21, v5
	v_cmp_le_u32_e32 vcc, s21, v1
	s_nop 0
	v_cndmask_b32_e64 v11, 0, -1, s[2:3]
	v_cmp_le_u32_e64 s[2:3], s20, v10
	s_nop 1
	v_cndmask_b32_e64 v10, 0, -1, s[2:3]
	v_cmp_eq_u32_e64 s[2:3], s21, v5
	s_nop 1
	v_cndmask_b32_e64 v5, v11, v10, s[2:3]
	v_lshl_add_u64 v[10:11], v[8:9], 0, 2
	v_cmp_ne_u32_e64 s[2:3], 0, v5
	s_nop 1
	v_cndmask_b32_e64 v5, v13, v11, s[2:3]
	v_cndmask_b32_e64 v11, 0, -1, vcc
	v_cmp_le_u32_e32 vcc, s20, v14
	s_nop 1
	v_cndmask_b32_e64 v13, 0, -1, vcc
	v_cmp_eq_u32_e32 vcc, s21, v1
	s_nop 1
	v_cndmask_b32_e32 v1, v11, v13, vcc
	v_cmp_ne_u32_e32 vcc, 0, v1
	v_cndmask_b32_e64 v1, v12, v10, s[2:3]
	s_nop 0
	v_cndmask_b32_e32 v9, v9, v5, vcc
	v_cndmask_b32_e32 v8, v8, v1, vcc
.LBB0_4:                                ;   in Loop: Header=BB0_2 Depth=1
	s_andn2_saveexec_b64 s[2:3], s[22:23]
	s_cbranch_execz .LBB0_6
; %bb.5:                                ;   in Loop: Header=BB0_2 Depth=1
	v_cvt_f32_u32_e32 v1, s20
	s_sub_i32 s22, 0, s20
	v_rcp_iflag_f32_e32 v1, v1
	s_nop 0
	v_mul_f32_e32 v1, 0x4f7ffffe, v1
	v_cvt_u32_f32_e32 v1, v1
	v_mul_lo_u32 v5, s22, v1
	v_mul_hi_u32 v5, v1, v5
	v_add_u32_e32 v1, v1, v5
	v_mul_hi_u32 v1, v6, v1
	v_mul_lo_u32 v5, v1, s20
	v_sub_u32_e32 v5, v6, v5
	v_add_u32_e32 v8, 1, v1
	v_subrev_u32_e32 v9, s20, v5
	v_cmp_le_u32_e32 vcc, s20, v5
	s_nop 1
	v_cndmask_b32_e32 v5, v5, v9, vcc
	v_cndmask_b32_e32 v1, v1, v8, vcc
	v_add_u32_e32 v8, 1, v1
	v_cmp_le_u32_e32 vcc, s20, v5
	v_mov_b32_e32 v9, v4
	s_nop 0
	v_cndmask_b32_e32 v8, v1, v8, vcc
.LBB0_6:                                ;   in Loop: Header=BB0_2 Depth=1
	s_or_b64 exec, exec, s[2:3]
	v_mad_u64_u32 v[10:11], s[2:3], v8, s20, 0
	s_load_dwordx2 s[2:3], s[14:15], 0x0
	v_mul_lo_u32 v1, v9, s20
	v_mul_lo_u32 v5, v8, s21
	v_add3_u32 v1, v11, v5, v1
	v_sub_co_u32_e32 v5, vcc, v6, v10
	s_add_u32 s16, s16, 1
	s_nop 0
	v_subb_co_u32_e32 v1, vcc, v7, v1, vcc
	s_addc_u32 s17, s17, 0
	s_waitcnt lgkmcnt(0)
	v_mul_lo_u32 v1, s2, v1
	v_mul_lo_u32 v6, s3, v5
	v_mad_u64_u32 v[2:3], s[2:3], s2, v5, v[2:3]
	s_add_u32 s14, s14, 8
	v_add3_u32 v3, v6, v3, v1
	s_addc_u32 s15, s15, 0
	v_mov_b64_e32 v[6:7], s[6:7]
	s_add_u32 s18, s18, 8
	v_cmp_ge_u64_e32 vcc, s[16:17], v[6:7]
	s_addc_u32 s19, s19, 0
	s_cbranch_vccnz .LBB0_9
; %bb.7:                                ;   in Loop: Header=BB0_2 Depth=1
	v_mov_b64_e32 v[6:7], v[8:9]
	s_branch .LBB0_2
.LBB0_8:
	v_mov_b64_e32 v[8:9], v[6:7]
.LBB0_9:
	s_lshl_b64 s[2:3], s[6:7], 3
	s_add_u32 s2, s12, s2
	s_addc_u32 s3, s13, s3
	s_load_dwordx2 s[6:7], s[2:3], 0x0
	s_load_dwordx2 s[12:13], s[0:1], 0x20
	s_mov_b32 s2, 0x2828283
                                        ; implicit-def: $vgpr20
                                        ; implicit-def: $vgpr19
	s_waitcnt lgkmcnt(0)
	v_mul_lo_u32 v1, s6, v9
	v_mul_lo_u32 v4, s7, v8
	v_mad_u64_u32 v[2:3], s[0:1], s6, v8, v[2:3]
	v_add3_u32 v3, v4, v3, v1
	v_mul_hi_u32 v1, v0, s2
	v_mul_u32_u24_e32 v1, 0x66, v1
	v_cmp_gt_u64_e32 vcc, s[12:13], v[8:9]
	v_cmp_le_u64_e64 s[0:1], s[12:13], v[8:9]
	v_sub_u32_e32 v18, v0, v1
                                        ; implicit-def: $sgpr2
	s_and_saveexec_b64 s[6:7], s[0:1]
	s_xor_b64 s[0:1], exec, s[6:7]
; %bb.10:
	v_add_u32_e32 v20, 0x66, v18
	v_add_u32_e32 v19, 0xcc, v18
	s_mov_b32 s2, 0
; %bb.11:
	s_or_saveexec_b64 s[0:1], s[0:1]
	v_mov_b32_e32 v0, s2
	v_lshl_add_u64 v[16:17], v[2:3], 2, s[10:11]
                                        ; implicit-def: $vgpr13
                                        ; implicit-def: $vgpr6
                                        ; implicit-def: $vgpr41
                                        ; implicit-def: $vgpr7
                                        ; implicit-def: $vgpr27
                                        ; implicit-def: $vgpr5
                                        ; implicit-def: $vgpr35
                                        ; implicit-def: $vgpr4
                                        ; implicit-def: $vgpr32
                                        ; implicit-def: $vgpr3
                                        ; implicit-def: $vgpr29
                                        ; implicit-def: $vgpr2
                                        ; implicit-def: $vgpr26
                                        ; implicit-def: $vgpr1
                                        ; implicit-def: $vgpr22
                                        ; implicit-def: $vgpr8
                                        ; implicit-def: $vgpr48
                                        ; implicit-def: $vgpr15
                                        ; implicit-def: $vgpr47
                                        ; implicit-def: $vgpr37
                                        ; implicit-def: $vgpr46
                                        ; implicit-def: $vgpr33
                                        ; implicit-def: $vgpr43
                                        ; implicit-def: $vgpr28
                                        ; implicit-def: $vgpr42
                                        ; implicit-def: $vgpr23
                                        ; implicit-def: $vgpr39
                                        ; implicit-def: $vgpr11
                                        ; implicit-def: $vgpr36
                                        ; implicit-def: $vgpr10
                                        ; implicit-def: $vgpr34
                                        ; implicit-def: $vgpr9
	s_xor_b64 exec, exec, s[0:1]
	s_cbranch_execz .LBB0_13
; %bb.12:
	v_mad_u64_u32 v[0:1], s[2:3], s8, v18, 0
	v_mov_b32_e32 v2, v1
	v_mad_u64_u32 v[2:3], s[2:3], s9, v18, v[2:3]
	v_mov_b32_e32 v1, v2
	v_add_u32_e32 v20, 0x66, v18
	v_lshl_add_u64 v[12:13], v[0:1], 2, v[16:17]
	v_mad_u64_u32 v[0:1], s[2:3], s8, v20, 0
	v_mov_b32_e32 v2, v1
	v_mad_u64_u32 v[2:3], s[2:3], s9, v20, v[2:3]
	v_mov_b32_e32 v1, v2
	v_add_u32_e32 v19, 0xcc, v18
	v_lshl_add_u64 v[8:9], v[0:1], 2, v[16:17]
	;; [unrolled: 6-line block ×7, first 2 shown]
	v_mad_u64_u32 v[0:1], s[2:3], s8, v3, 0
	v_mov_b32_e32 v2, v1
	v_mad_u64_u32 v[2:3], s[2:3], s9, v3, v[2:3]
	v_mov_b32_e32 v1, v2
	v_lshl_add_u64 v[28:29], v[0:1], 2, v[16:17]
	global_load_dword v6, v[8:9], off
	global_load_dword v7, v[10:11], off
	;; [unrolled: 1-line block ×7, first 2 shown]
	v_add_u32_e32 v10, 0x330, v18
	v_mad_u64_u32 v[8:9], s[2:3], s8, v10, 0
	v_mov_b32_e32 v0, v9
	v_add_u32_e32 v21, 0x660, v18
	s_waitcnt vmcnt(2)
	v_lshrrev_b32_e32 v32, 16, v3
	s_waitcnt vmcnt(1)
	v_lshrrev_b32_e32 v29, 16, v2
	s_waitcnt vmcnt(0)
	v_mad_u64_u32 v[10:11], s[2:3], s9, v10, v[0:1]
	v_mov_b32_e32 v9, v10
	v_add_u32_e32 v10, 0x396, v18
	v_lshl_add_u64 v[14:15], v[8:9], 2, v[16:17]
	v_mad_u64_u32 v[8:9], s[2:3], s8, v10, 0
	v_mov_b32_e32 v0, v9
	v_mad_u64_u32 v[10:11], s[2:3], s9, v10, v[0:1]
	v_mov_b32_e32 v9, v10
	v_add_u32_e32 v10, 0x3fc, v18
	v_lshl_add_u64 v[24:25], v[8:9], 2, v[16:17]
	v_mad_u64_u32 v[8:9], s[2:3], s8, v10, 0
	v_mov_b32_e32 v0, v9
	;; [unrolled: 6-line block ×7, first 2 shown]
	v_mad_u64_u32 v[10:11], s[2:3], s9, v10, v[0:1]
	v_mov_b32_e32 v9, v10
	v_lshl_add_u64 v[42:43], v[8:9], 2, v[16:17]
	global_load_dword v8, v[14:15], off
	global_load_dword v9, v[24:25], off
	;; [unrolled: 1-line block ×8, first 2 shown]
	v_mad_u64_u32 v[14:15], s[2:3], s8, v21, 0
	v_mov_b32_e32 v0, v15
	v_mad_u64_u32 v[24:25], s[2:3], s9, v21, v[0:1]
	v_mov_b32_e32 v15, v24
	v_lshl_add_u64 v[24:25], v[14:15], 2, v[16:17]
	global_load_dword v15, v[24:25], off
	global_load_dword v0, v[12:13], off
	v_lshrrev_b32_e32 v13, 16, v6
	v_lshrrev_b32_e32 v41, 16, v7
	;; [unrolled: 1-line block ×5, first 2 shown]
	s_waitcnt vmcnt(9)
	v_lshrrev_b32_e32 v22, 16, v8
	s_waitcnt vmcnt(8)
	v_lshrrev_b32_e32 v34, 16, v9
	;; [unrolled: 2-line block ×9, first 2 shown]
.LBB0_13:
	s_or_b64 exec, exec, s[0:1]
	v_sub_f16_e32 v14, v13, v48
	v_add_f16_e32 v12, v6, v15
	s_mov_b32 s6, 0xb461
	v_mul_f16_e32 v53, 0xbbb2, v14
	v_sub_f16_e32 v31, v41, v47
	v_fma_f16 v21, v12, s6, -v53
	v_add_f16_e32 v30, v7, v37
	s_mov_b32 s15, 0xbacd
	v_mul_f16_e32 v60, 0x3836, v31
	v_sub_f16_e32 v40, v27, v46
	s_waitcnt vmcnt(0)
	v_add_f16_e32 v21, v21, v0
	v_fma_f16 v24, v30, s15, -v60
	v_add_f16_e32 v38, v5, v33
	s_movk_i32 s14, 0x39e9
	v_mul_f16_e32 v61, 0x3964, v40
	v_sub_f16_e32 v45, v35, v43
	v_add_f16_e32 v21, v24, v21
	v_fma_f16 v24, v38, s14, -v61
	v_add_f16_e32 v44, v4, v28
	s_movk_i32 s7, 0x3722
	v_mul_f16_e32 v62, 0xbb29, v45
	v_sub_f16_e32 v63, v32, v42
	s_mov_b32 s12, 0xbbdd
	v_add_f16_e32 v21, v24, v21
	v_fma_f16 v24, v44, s7, -v62
	v_add_f16_e32 v55, v3, v23
	v_mul_f16_e32 v64, 0xb1e1, v63
	v_sub_f16_e32 v66, v29, v39
	v_add_f16_e32 v21, v24, v21
	v_fma_f16 v24, v55, s12, -v64
	v_add_f16_e32 v65, v2, v11
	s_movk_i32 s10, 0x2de8
	v_mul_f16_e32 v67, 0x3bf7, v66
	v_sub_f16_e32 v69, v26, v36
	s_movk_i32 s13, 0x3b76
	v_add_f16_e32 v21, v24, v21
	v_fma_f16 v24, v65, s10, -v67
	v_add_f16_e32 v68, v1, v10
	v_mul_f16_e32 v70, 0xb5c8, v69
	v_add_f16_e32 v21, v24, v21
	v_fma_f16 v24, v68, s13, -v70
	v_sub_f16_e32 v25, v22, v34
	s_mov_b32 s11, 0xb8d2
	v_add_f16_e32 v21, v24, v21
	v_add_f16_e32 v24, v8, v9
	v_mul_f16_e32 v71, 0xba62, v25
	s_mov_b32 s21, 0xb964b5c8
	v_fma_f16 v49, v24, s11, -v71
	s_mov_b32 s16, 0x39e93b76
	v_pk_mul_f16 v72, v14, s21 op_sel_hi:[0,1]
	s_mov_b32 s23, 0xbbf7b964
	v_add_f16_e32 v21, v49, v21
	v_pk_fma_f16 v49, v12, s16, v72 op_sel_hi:[0,1,1] neg_lo:[0,0,1] neg_hi:[0,0,1]
	s_mov_b32 s17, 0x2de839e9
	v_pk_mul_f16 v73, v31, s23 op_sel_hi:[0,1]
	s_mov_b32 s25, 0xba62bb29
	v_pk_add_f16 v49, v49, v0 op_sel_hi:[1,0]
	v_pk_fma_f16 v50, v30, s17, v73 op_sel_hi:[0,1,1] neg_lo:[0,0,1] neg_hi:[0,0,1]
	s_mov_b32 s18, 0xb8d23722
	v_pk_mul_f16 v74, v40, s25 op_sel_hi:[0,1]
	s_mov_b32 s26, 0xb1e1bbf7
	v_pk_add_f16 v49, v50, v49
	v_pk_fma_f16 v50, v38, s18, v74 op_sel_hi:[0,1,1] neg_lo:[0,0,1] neg_hi:[0,0,1]
	s_mov_b32 s19, 0xbbdd2de8
	v_pk_mul_f16 v75, v45, s26 op_sel_hi:[0,1]
	s_mov_b32 s36, 0x3836bbb2
	v_pk_add_f16 v49, v50, v49
	;; [unrolled: 5-line block ×7, first 2 shown]
	v_pk_fma_f16 v50, v12, s28, v80 op_sel_hi:[0,1,1] neg_lo:[0,0,1] neg_hi:[0,0,1]
	s_mov_b32 s29, 0xbbddb8d2
	v_pk_mul_f16 v81, v31, s42 op_sel_hi:[0,1]
	s_mov_b32 s43, 0x3bb231e1
	v_pk_add_f16 v50, v50, v0 op_sel_hi:[1,0]
	v_pk_fma_f16 v51, v30, s29, v81 op_sel_hi:[0,1,1] neg_lo:[0,0,1] neg_hi:[0,0,1]
	s_mov_b32 s30, 0xb461bbdd
	v_pk_mul_f16 v82, v40, s43 op_sel_hi:[0,1]
	s_mov_b32 s44, 0x35c83bb2
	v_pk_add_f16 v50, v51, v50
	v_pk_fma_f16 v51, v38, s30, v82 op_sel_hi:[0,1,1] neg_lo:[0,0,1] neg_hi:[0,0,1]
	s_mov_b32 s31, 0x3b76b461
	v_pk_mul_f16 v83, v45, s44 op_sel_hi:[0,1]
	s_mov_b32 s45, 0xbb293964
	v_pk_add_f16 v50, v51, v50
	;; [unrolled: 5-line block ×5, first 2 shown]
	v_pk_fma_f16 v51, v68, s35, v86 op_sel_hi:[0,1,1] neg_lo:[0,0,1] neg_hi:[0,0,1]
	s_mov_b32 s37, 0x39e9bacd
	v_pk_mul_f16 v87, v25, s48 op_sel_hi:[0,1]
	v_pk_add_f16 v50, v51, v50
	v_pk_fma_f16 v51, v24, s37, v87 op_sel_hi:[0,1,1] neg_lo:[0,0,1] neg_hi:[0,0,1]
	v_pk_add_f16 v50, v51, v50
	s_mov_b32 s61, 0xb836ba62
	v_alignbit_b32 v58, v21, v50, 16
	v_add_f16_e32 v21, v6, v0
	v_add_f16_e32 v21, v7, v21
	;; [unrolled: 1-line block ×16, first 2 shown]
	v_alignbit_b32 v57, v50, v49, 16
	v_pack_b32_f16 v56, v21, v49
	v_add_f16_sdwa v49, v13, v0 dst_sel:DWORD dst_unused:UNUSED_PAD src0_sel:DWORD src1_sel:WORD_1
	v_add_f16_e32 v49, v41, v49
	v_add_f16_e32 v49, v27, v49
	;; [unrolled: 1-line block ×4, first 2 shown]
	s_mov_b32 s0, 0xbacdb8d2
	v_pk_mul_f16 v88, v14, s61 op_sel_hi:[0,1]
	s_mov_b32 s53, 0x3b293bb2
	v_add_f16_e32 v49, v29, v49
	v_pk_fma_f16 v51, v12, s0, v88 op_sel_hi:[0,1,1] neg_lo:[0,0,1] neg_hi:[0,0,1]
	s_mov_b32 s1, 0x3722b461
	v_pk_mul_f16 v89, v31, s53 op_sel_hi:[0,1]
	s_mov_b32 s54, 0xbbf7b5c8
	v_add_f16_e32 v49, v26, v49
	v_pk_add_f16 v51, v51, v0 op_sel_hi:[1,0]
	v_pk_fma_f16 v52, v30, s1, v89 op_sel_hi:[0,1,1] neg_lo:[0,0,1] neg_hi:[0,0,1]
	s_mov_b32 s2, 0x2de83b76
	v_pk_mul_f16 v90, v40, s54 op_sel_hi:[0,1]
	s_mov_b32 s55, 0x3a62b836
	v_add_f16_e32 v49, v22, v49
	v_pk_add_f16 v51, v52, v51
	v_pk_fma_f16 v52, v38, s2, v90 op_sel_hi:[0,1,1] neg_lo:[0,0,1] neg_hi:[0,0,1]
	s_mov_b32 s3, 0xb8d2bacd
	v_pk_mul_f16 v91, v45, s55 op_sel_hi:[0,1]
	s_mov_b32 s56, 0xb5c83bf7
	v_add_f16_e32 v49, v34, v49
	v_pk_add_f16 v51, v52, v51
	;; [unrolled: 6-line block ×5, first 2 shown]
	v_pk_fma_f16 v52, v68, s51, v94 op_sel_hi:[0,1,1] neg_lo:[0,0,1] neg_hi:[0,0,1]
	s_mov_b32 s52, 0xb4613722
	v_pk_mul_f16 v95, v25, s60 op_sel_hi:[0,1]
	v_add_f16_e32 v49, v43, v49
	v_pk_add_f16 v51, v52, v51
	v_pk_fma_f16 v52, v24, s52, v95 op_sel_hi:[0,1,1] neg_lo:[0,0,1] neg_hi:[0,0,1]
	v_add_f16_e32 v49, v46, v49
	v_pk_add_f16 v59, v52, v51
	v_mad_u32_u24 v21, v18, 34, 0
	v_add_f16_e32 v49, v47, v49
	v_sub_f16_e32 v15, v6, v15
	ds_write_b128 v21, v[56:59]
	v_add_f16_e32 v56, v48, v49
	v_add_f16_e32 v13, v13, v48
	v_sub_f16_e32 v7, v7, v37
	v_mul_f16_e32 v48, 0xbbb2, v15
	v_add_f16_e32 v6, v41, v47
	v_fma_f16 v37, v13, s6, v48
	v_mul_f16_e32 v47, 0x3836, v7
	v_add_f16_sdwa v37, v37, v0 dst_sel:DWORD dst_unused:UNUSED_PAD src0_sel:DWORD src1_sel:WORD_1
	v_fma_f16 v41, v6, s15, v47
	v_add_f16_e32 v37, v41, v37
	v_mul_f16_e32 v41, 0xb1e1, v14
	v_fma_f16 v49, v12, s12, -v41
	v_mul_f16_e32 v57, 0x35c8, v31
	v_add_f16_e32 v49, v49, v0
	v_fma_f16 v50, v30, s13, -v57
	v_sub_f16_e32 v5, v5, v33
	v_add_f16_e32 v50, v50, v49
	v_add_f16_e32 v27, v27, v46
	v_mul_f16_e32 v49, 0x3964, v5
	v_fma_f16 v33, v27, s14, v49
	v_add_f16_e32 v33, v33, v37
	v_mul_f16_e32 v37, 0xb836, v40
	v_fma_f16 v46, v38, s15, -v37
	v_sub_f16_e32 v4, v4, v28
	v_add_f16_e32 v46, v46, v50
	v_add_f16_e32 v35, v35, v43
	v_mul_f16_e32 v50, 0xbb29, v4
	v_fma_f16 v28, v35, s7, v50
	v_mul_f16_e32 v43, 0x3964, v45
	v_add_f16_e32 v33, v28, v33
	v_fma_f16 v28, v44, s14, -v43
	v_sub_f16_e32 v3, v3, v23
	v_add_f16_e32 v46, v28, v46
	v_add_f16_e32 v28, v32, v42
	v_mul_f16_e32 v51, 0xb1e1, v3
	v_fma_f16 v23, v28, s12, v51
	v_mul_f16_e32 v32, 0xba62, v63
	v_add_f16_e32 v23, v23, v33
	;; [unrolled: 8-line block ×4, first 2 shown]
	v_fma_f16 v10, v68, s6, -v26
	v_sub_f16_e32 v8, v8, v9
	v_add_f16_e32 v33, v10, v33
	v_add_f16_e32 v10, v22, v34
	v_mul_f16_e32 v9, 0xba62, v8
	v_fma_f16 v22, v10, s11, v9
	v_add_f16_e32 v22, v22, v23
	v_mul_f16_e32 v23, 0x3bf7, v25
	v_fma_f16 v34, v24, s10, -v23
	v_add_f16_e32 v34, v34, v33
	v_fma_f16 v33, v12, s13, v72
	v_add_f16_e32 v33, v33, v0
	v_fma_f16 v36, v30, s14, v73
	;; [unrolled: 2-line block ×8, first 2 shown]
	v_add_f16_e32 v36, v36, v33
	v_pk_mul_f16 v33, v12, s0 op_sel_hi:[0,1]
	v_add_f16_e32 v39, v88, v33
	v_pk_mul_f16 v42, v30, s1 op_sel_hi:[0,1]
	v_add_f16_e32 v39, v39, v0
	v_add_f16_e32 v58, v89, v42
	;; [unrolled: 1-line block ×3, first 2 shown]
	v_pk_mul_f16 v58, v38, s2 op_sel_hi:[0,1]
	v_add_f16_e32 v59, v90, v58
	v_add_f16_e32 v39, v59, v39
	v_pk_mul_f16 v59, v44, s3 op_sel_hi:[0,1]
	v_add_f16_e32 v72, v91, v59
	v_add_f16_e32 v39, v72, v39
	;; [unrolled: 3-line block ×6, first 2 shown]
	s_mov_b32 s58, 0xffff
	v_mul_f16_e32 v76, 0xbbdd, v12
	v_bfi_b32 v41, s58, v41, v88
	v_bfi_b32 v33, s58, v76, v33
	v_pk_add_f16 v33, v41, v33
	v_bfi_b32 v41, s58, v57, v89
	v_mul_f16_e32 v57, 0x3b76, v30
	v_bfi_b32 v42, s58, v57, v42
	v_pk_add_f16 v41, v41, v42
	v_pk_add_f16 v33, v33, v0 op_sel_hi:[1,0]
	v_bfi_b32 v37, s58, v37, v90
	v_pk_add_f16 v33, v41, v33
	v_mul_f16_e32 v41, 0xbacd, v38
	v_bfi_b32 v41, s58, v41, v58
	v_pk_add_f16 v37, v37, v41
	v_mul_f16_e32 v41, 0x39e9, v44
	v_pk_add_f16 v33, v37, v33
	v_bfi_b32 v37, s58, v43, v91
	v_bfi_b32 v41, s58, v41, v59
	v_pk_add_f16 v37, v37, v41
	v_bfi_b32 v32, s58, v32, v92
	v_pk_add_f16 v33, v37, v33
	v_mul_f16_e32 v37, 0xb8d2, v55
	v_bfi_b32 v37, s58, v37, v72
	v_pk_add_f16 v32, v32, v37
	v_bfi_b32 v29, s58, v29, v93
	v_pk_add_f16 v32, v32, v33
	v_mul_f16_e32 v33, 0x3722, v65
	;; [unrolled: 5-line block ×4, first 2 shown]
	v_bfi_b32 v29, s58, v29, v75
	s_mov_b32 s63, 0x39e93722
	v_pk_add_f16 v23, v23, v29
	v_mul_f16_e32 v29, 0xb461, v12
	v_pk_mul_f16 v32, v12, s28 op_sel_hi:[0,1]
	s_mov_b32 s62, 0xb964bb29
	v_pk_mul_f16 v12, v12, s63 op_sel_hi:[0,1]
	s_mov_b32 s65, 0x2de8b8d2
	v_pk_fma_f16 v12, v14, s62, v12 op_sel_hi:[0,1,1]
	s_mov_b32 s64, 0xbbf7ba62
	v_pk_mul_f16 v14, v30, s65 op_sel_hi:[0,1]
	v_pk_add_f16 v12, v12, v0 op_sel_hi:[1,0]
	v_pk_fma_f16 v14, v31, s64, v14 op_sel_hi:[0,1,1]
	s_mov_b32 s67, 0xb8d2bbdd
	v_pk_add_f16 v23, v23, v26
	v_bfi_b32 v26, s58, v53, v80
	v_bfi_b32 v29, s58, v29, v32
	v_mul_f16_e32 v32, 0xbacd, v30
	v_pk_mul_f16 v33, v30, s29 op_sel_hi:[0,1]
	v_pk_add_f16 v12, v14, v12
	s_mov_b32 s66, 0xba6231e1
	v_pk_mul_f16 v14, v38, s67 op_sel_hi:[0,1]
	v_pk_add_f16 v26, v26, v29
	v_bfi_b32 v29, s58, v60, v81
	v_bfi_b32 v32, s58, v32, v33
	v_pk_fma_f16 v14, v40, s66, v14 op_sel_hi:[0,1,1]
	s_mov_b32 s69, 0xbbddb461
	v_pk_add_f16 v29, v29, v32
	v_pk_add_f16 v26, v26, v0 op_sel_hi:[1,0]
	v_mul_f16_e32 v32, 0x39e9, v38
	v_pk_mul_f16 v33, v38, s30 op_sel_hi:[0,1]
	v_pk_add_f16 v12, v14, v12
	s_mov_b32 s68, 0xb1e13bb2
	v_pk_mul_f16 v14, v44, s69 op_sel_hi:[0,1]
	v_pk_add_f16 v26, v29, v26
	v_bfi_b32 v29, s58, v61, v82
	v_bfi_b32 v32, s58, v32, v33
	v_pk_fma_f16 v14, v45, s68, v14 op_sel_hi:[0,1,1]
	s_mov_b32 s71, 0xbacd39e9
	v_pk_add_f16 v29, v29, v32
	v_mul_f16_e32 v32, 0x3722, v44
	v_pk_mul_f16 v33, v44, s31 op_sel_hi:[0,1]
	v_pk_add_f16 v12, v14, v12
	s_mov_b32 s70, 0x38363964
	v_pk_mul_f16 v14, v55, s71 op_sel_hi:[0,1]
	v_pk_add_f16 v26, v29, v26
	v_bfi_b32 v29, s58, v62, v83
	v_bfi_b32 v32, s58, v32, v33
	v_pk_fma_f16 v14, v63, s70, v14 op_sel_hi:[0,1,1]
	s_mov_b32 s73, 0xb4613b76
	v_pk_add_f16 v29, v29, v32
	;; [unrolled: 11-line block ×3, first 2 shown]
	v_mul_f16_e32 v32, 0x2de8, v65
	v_pk_mul_f16 v37, v65, s34 op_sel_hi:[0,1]
	v_pk_add_f16 v12, v14, v12
	s_mov_b32 s74, 0x3b29bbf7
	v_pk_mul_f16 v14, v68, s75 op_sel_hi:[0,1]
	v_bfi_b32 v33, s58, v67, v85
	v_bfi_b32 v32, s58, v32, v37
	v_pk_fma_f16 v14, v69, s74, v14 op_sel_hi:[0,1,1]
	v_pk_add_f16 v26, v29, v26
	v_pk_add_f16 v32, v33, v32
	v_pk_add_f16 v12, v14, v12
	v_pk_mul_f16 v14, v15, s61 op_sel_hi:[0,1]
	s_mov_b32 s61, 0x3b76bacd
	v_mul_f16_e32 v37, 0xb8d2, v24
	v_pk_add_f16 v26, v32, v26
	v_pk_mul_f16 v32, v24, s37 op_sel_hi:[0,1]
	s_mov_b32 s76, 0x35c8b836
	v_pk_mul_f16 v24, v24, s61 op_sel_hi:[0,1]
	v_mul_f16_e32 v29, 0x3b76, v68
	v_pk_mul_f16 v33, v68, s35 op_sel_hi:[0,1]
	v_pk_fma_f16 v24, v25, s76, v24 op_sel_hi:[0,1,1]
	v_bfi_b32 v29, s58, v29, v33
	v_pk_add_f16 v33, v24, v12
	v_pk_mul_f16 v12, v15, s21 op_sel_hi:[0,1]
	v_alignbit_b32 v31, v39, v23, 16
	v_pack_b32_f16 v30, v34, v23
	v_pk_fma_f16 v23, v13, s16, v12 op_sel_hi:[0,1,1]
	v_pk_mul_f16 v53, v7, s23 op_sel_hi:[0,1]
	v_pk_add_f16 v23, v23, v0 op_sel:[0,1]
	v_pk_fma_f16 v24, v6, s17, v53 op_sel_hi:[0,1,1]
	v_pk_mul_f16 v55, v5, s25 op_sel_hi:[0,1]
	v_pk_add_f16 v23, v24, v23
	v_pk_fma_f16 v24, v27, s18, v55 op_sel_hi:[0,1,1]
	v_pk_mul_f16 v60, v4, s26 op_sel_hi:[0,1]
	v_pk_add_f16 v23, v24, v23
	;; [unrolled: 3-line block ×7, first 2 shown]
	v_pk_fma_f16 v24, v13, s28, v65 op_sel_hi:[0,1,1]
	v_pk_mul_f16 v66, v7, s42 op_sel_hi:[0,1]
	v_pk_add_f16 v24, v24, v0 op_sel:[0,1]
	v_pk_fma_f16 v25, v6, s29, v66 op_sel_hi:[0,1,1]
	v_pk_mul_f16 v67, v5, s43 op_sel_hi:[0,1]
	v_fma_f16 v12, v13, s13, -v12
	v_pk_add_f16 v24, v25, v24
	v_pk_fma_f16 v25, v27, s30, v67 op_sel_hi:[0,1,1]
	v_pk_mul_f16 v68, v4, s44 op_sel_hi:[0,1]
	v_add_f16_sdwa v12, v12, v0 dst_sel:DWORD dst_unused:UNUSED_PAD src0_sel:DWORD src1_sel:WORD_1
	v_fma_f16 v53, v6, s14, -v53
	v_bfi_b32 v41, s58, v70, v86
	v_pk_add_f16 v24, v25, v24
	v_pk_fma_f16 v25, v35, s31, v68 op_sel_hi:[0,1,1]
	v_pk_mul_f16 v69, v3, s45 op_sel_hi:[0,1]
	v_add_f16_e32 v12, v53, v12
	v_fma_f16 v53, v27, s7, -v55
	v_pk_add_f16 v29, v41, v29
	v_pk_add_f16 v24, v25, v24
	v_pk_fma_f16 v25, v28, s33, v69 op_sel_hi:[0,1,1]
	v_pk_mul_f16 v70, v2, s46 op_sel_hi:[0,1]
	v_add_f16_e32 v12, v53, v12
	v_fma_f16 v53, v35, s10, -v60
	v_pk_add_f16 v26, v29, v26
	v_bfi_b32 v29, s58, v71, v87
	v_pk_add_f16 v24, v25, v24
	v_pk_fma_f16 v25, v46, s34, v70 op_sel_hi:[0,1,1]
	v_pk_mul_f16 v71, v1, s47 op_sel_hi:[0,1]
	v_add_f16_e32 v12, v53, v12
	v_fma_f16 v53, v28, s6, -v61
	v_pk_add_f16 v24, v25, v24
	v_pk_fma_f16 v25, v11, s35, v71 op_sel_hi:[0,1,1]
	v_pk_mul_f16 v72, v8, s48 op_sel_hi:[0,1]
	v_add_f16_e32 v12, v53, v12
	v_fma_f16 v53, v46, s11, -v62
	v_bfi_b32 v32, s58, v37, v32
	v_pk_add_f16 v24, v25, v24
	v_pk_fma_f16 v25, v10, s37, v72 op_sel_hi:[0,1,1]
	v_add_f16_e32 v12, v53, v12
	v_fma_f16 v53, v11, s15, -v63
	v_pk_add_f16 v29, v29, v32
	v_pk_add_f16 v24, v25, v24
	v_pk_fma_f16 v25, v13, s0, v14 op_sel_hi:[0,1,1]
	v_pk_mul_f16 v73, v7, s53 op_sel_hi:[0,1]
	v_add_f16_e32 v12, v53, v12
	v_fma_f16 v53, v10, s12, -v64
	v_pk_add_f16 v32, v29, v26
	v_pk_add_f16 v25, v25, v0 op_sel:[0,1]
	v_pk_fma_f16 v26, v6, s1, v73 op_sel_hi:[0,1,1]
	v_pk_mul_f16 v74, v5, s54 op_sel_hi:[0,1]
	v_add_f16_e32 v53, v53, v12
	v_pk_fma_f16 v12, v13, s0, v14 op_sel_hi:[0,1,1] neg_lo:[0,0,1] neg_hi:[0,0,1]
	v_pk_add_f16 v25, v26, v25
	v_pk_fma_f16 v26, v27, s2, v74 op_sel_hi:[0,1,1]
	v_pk_mul_f16 v75, v4, s55 op_sel_hi:[0,1]
	v_pk_add_f16 v12, v12, v0 op_sel:[0,1]
	v_pk_fma_f16 v14, v6, s1, v73 op_sel_hi:[0,1,1] neg_lo:[0,0,1] neg_hi:[0,0,1]
	v_pk_add_f16 v25, v26, v25
	v_pk_fma_f16 v26, v35, s3, v75 op_sel_hi:[0,1,1]
	v_pk_mul_f16 v76, v3, s56 op_sel_hi:[0,1]
	v_pk_add_f16 v12, v14, v12
	v_pk_fma_f16 v14, v27, s2, v74 op_sel_hi:[0,1,1] neg_lo:[0,0,1] neg_hi:[0,0,1]
	v_pk_add_f16 v25, v26, v25
	v_pk_fma_f16 v26, v28, s49, v76 op_sel_hi:[0,1,1]
	v_pk_mul_f16 v77, v2, s57 op_sel_hi:[0,1]
	v_pk_add_f16 v12, v14, v12
	;; [unrolled: 5-line block ×4, first 2 shown]
	v_pk_fma_f16 v14, v46, s50, v77 op_sel_hi:[0,1,1] neg_lo:[0,0,1] neg_hi:[0,0,1]
	v_pk_add_f16 v25, v26, v25
	v_pk_fma_f16 v26, v10, s52, v79 op_sel_hi:[0,1,1]
	v_alignbit_b32 v58, v22, v24, 16
	v_alignbit_b32 v57, v24, v23, 16
	v_lshlrev_b32_e32 v24, 5, v18
	v_pk_add_f16 v12, v14, v12
	v_pk_fma_f16 v14, v11, s51, v78 op_sel_hi:[0,1,1] neg_lo:[0,0,1] neg_hi:[0,0,1]
	v_pk_add_f16 v59, v26, v25
	v_pack_b32_f16 v56, v56, v23
	v_sub_u32_e32 v25, v21, v24
	v_lshl_add_u32 v23, v20, 1, 0
	v_pk_add_f16 v12, v14, v12
	v_pk_fma_f16 v14, v10, s52, v79 op_sel_hi:[0,1,1] neg_lo:[0,0,1] neg_hi:[0,0,1]
	ds_write_b128 v21, v[30:33] offset:16
	ds_write_b16 v21, v36 offset:32
	s_waitcnt lgkmcnt(0)
	s_barrier
	ds_read_u16 v44, v23
	v_lshl_add_u32 v22, v19, 1, 0
	ds_read_u16 v42, v25 offset:816
	ds_read_u16 v41, v25 offset:1020
	;; [unrolled: 1-line block ×5, first 2 shown]
	ds_read_u16 v26, v25
	ds_read_u16 v45, v22
	ds_read_u16 v39, v25 offset:1632
	ds_read_u16 v37, v25 offset:1836
	;; [unrolled: 1-line block ×9, first 2 shown]
	s_waitcnt lgkmcnt(0)
	s_barrier
	ds_write_b128 v21, v[56:59]
	v_mul_f16_e32 v56, 0xb1e1, v15
	v_pk_add_f16 v14, v14, v12
	v_mul_f16_e32 v12, 0xb461, v13
	v_pk_mul_f16 v55, v13, s28 op_sel_hi:[0,1]
	v_fma_f16 v57, v13, s12, v56
	v_mul_f16_e32 v58, 0x35c8, v7
	v_fma_f16 v56, v13, s12, -v56
	v_bfi_b32 v12, s58, v12, v55
	v_bfi_b32 v48, s58, v48, v65
	v_fma_f16 v59, v6, s13, v58
	v_add_f16_sdwa v56, v56, v0 dst_sel:DWORD dst_unused:UNUSED_PAD src0_sel:DWORD src1_sel:WORD_1
	v_fma_f16 v58, v6, s13, -v58
	v_pk_add_f16 v12, v12, v48 neg_lo:[0,1] neg_hi:[0,1]
	v_mul_f16_e32 v48, 0xbacd, v6
	v_pk_mul_f16 v55, v6, s29 op_sel_hi:[0,1]
	v_add_f16_sdwa v57, v57, v0 dst_sel:DWORD dst_unused:UNUSED_PAD src0_sel:DWORD src1_sel:WORD_1
	v_add_f16_e32 v56, v58, v56
	v_mul_f16_e32 v58, 0xb836, v5
	v_bfi_b32 v48, s58, v48, v55
	v_bfi_b32 v47, s58, v47, v66
	v_add_f16_e32 v57, v59, v57
	v_fma_f16 v59, v27, s15, v58
	v_fma_f16 v58, v27, s15, -v58
	v_pk_add_f16 v47, v48, v47 neg_lo:[0,1] neg_hi:[0,1]
	v_pk_add_f16 v12, v12, v0 op_sel:[0,1]
	v_add_f16_e32 v56, v58, v56
	v_mul_f16_e32 v58, 0x3964, v4
	v_pk_add_f16 v12, v47, v12
	v_mul_f16_e32 v47, 0x39e9, v27
	v_pk_mul_f16 v48, v27, s30 op_sel_hi:[0,1]
	v_add_f16_e32 v57, v59, v57
	v_fma_f16 v59, v35, s14, v58
	v_fma_f16 v58, v35, s14, -v58
	v_bfi_b32 v47, s58, v47, v48
	v_bfi_b32 v48, s58, v49, v67
	v_add_f16_e32 v56, v58, v56
	v_mul_f16_e32 v58, 0xba62, v3
	v_pk_add_f16 v47, v47, v48 neg_lo:[0,1] neg_hi:[0,1]
	v_add_f16_e32 v57, v59, v57
	v_fma_f16 v59, v28, s11, v58
	v_fma_f16 v58, v28, s11, -v58
	v_mul_f16_e32 v49, 0x3722, v35
	v_pk_add_f16 v12, v47, v12
	v_pk_mul_f16 v47, v35, s31 op_sel_hi:[0,1]
	v_add_f16_e32 v56, v58, v56
	v_mul_f16_e32 v58, 0x3b29, v2
	v_bfi_b32 v47, s58, v49, v47
	v_bfi_b32 v50, s58, v50, v68
	v_add_f16_e32 v57, v59, v57
	v_fma_f16 v59, v46, s7, v58
	v_fma_f16 v58, v46, s7, -v58
	v_pk_add_f16 v47, v47, v50 neg_lo:[0,1] neg_hi:[0,1]
	v_add_f16_e32 v56, v58, v56
	v_mul_f16_e32 v58, 0xbbb2, v1
	v_mul_f16_e32 v48, 0xbbdd, v28
	v_pk_add_f16 v12, v47, v12
	v_pk_mul_f16 v47, v28, s33 op_sel_hi:[0,1]
	v_add_f16_e32 v57, v59, v57
	v_fma_f16 v59, v11, s6, v58
	v_fma_f16 v58, v11, s6, -v58
	v_bfi_b32 v47, s58, v48, v47
	v_bfi_b32 v51, s58, v51, v69
	v_add_f16_e32 v56, v58, v56
	v_mul_f16_e32 v58, 0x3bf7, v8
	v_mul_f16_e32 v49, 0x2de8, v46
	v_pk_mul_f16 v48, v46, s34 op_sel_hi:[0,1]
	v_pk_add_f16 v47, v47, v51 neg_lo:[0,1] neg_hi:[0,1]
	v_add_f16_e32 v57, v59, v57
	v_fma_f16 v59, v10, s10, v58
	v_fma_f16 v58, v10, s10, -v58
	v_pk_add_f16 v12, v47, v12
	v_bfi_b32 v47, s58, v49, v48
	v_bfi_b32 v48, s58, v52, v70
	v_add_f16_e32 v56, v58, v56
	v_mul_f16_e32 v55, 0x3b76, v11
	v_pk_mul_f16 v58, v11, s35 op_sel_hi:[0,1]
	v_pk_add_f16 v47, v47, v48 neg_lo:[0,1] neg_hi:[0,1]
	v_bfi_b32 v48, s58, v54, v71
	v_pk_add_f16 v12, v47, v12
	v_bfi_b32 v47, s58, v55, v58
	v_mul_f16_e32 v50, 0xb8d2, v10
	v_pk_mul_f16 v51, v10, s37 op_sel_hi:[0,1]
	v_pk_add_f16 v47, v47, v48 neg_lo:[0,1] neg_hi:[0,1]
	v_bfi_b32 v9, s58, v9, v72
	v_pk_add_f16 v12, v47, v12
	v_bfi_b32 v47, s58, v50, v51
	v_pk_add_f16 v9, v47, v9 neg_lo:[0,1] neg_hi:[0,1]
	v_pk_mul_f16 v7, v7, s64 op_sel_hi:[0,1]
	v_pk_add_f16 v12, v9, v12
	v_pk_mul_f16 v9, v15, s62 op_sel_hi:[0,1]
	v_pk_fma_f16 v9, v13, s63, v9 op_sel_hi:[0,1,1] neg_lo:[0,0,1] neg_hi:[0,0,1]
	v_pk_add_f16 v0, v9, v0 op_sel:[0,1]
	v_pk_fma_f16 v6, v6, s65, v7 op_sel_hi:[0,1,1] neg_lo:[0,0,1] neg_hi:[0,0,1]
	v_pk_mul_f16 v5, v5, s66 op_sel_hi:[0,1]
	v_pk_add_f16 v0, v6, v0
	v_pk_fma_f16 v5, v27, s67, v5 op_sel_hi:[0,1,1] neg_lo:[0,0,1] neg_hi:[0,0,1]
	v_pk_mul_f16 v4, v4, s68 op_sel_hi:[0,1]
	v_pk_add_f16 v0, v5, v0
	;; [unrolled: 3-line block ×5, first 2 shown]
	v_pk_fma_f16 v1, v11, s75, v1 op_sel_hi:[0,1,1] neg_lo:[0,0,1] neg_hi:[0,0,1]
	v_pk_add_f16 v0, v1, v0
	v_pk_mul_f16 v1, v8, s76 op_sel_hi:[0,1]
	v_pk_fma_f16 v1, v10, s61, v1 op_sel_hi:[0,1,1] neg_lo:[0,0,1] neg_hi:[0,0,1]
	s_movk_i32 s0, 0xf1
	v_pk_add_f16 v13, v1, v0
	v_mul_lo_u16_sdwa v0, v18, s0 dst_sel:DWORD dst_unused:UNUSED_PAD src0_sel:BYTE_0 src1_sel:DWORD
	v_lshrrev_b16_e32 v27, 12, v0
	v_mul_lo_u16_e32 v0, 17, v27
	v_add_f16_e32 v57, v59, v57
	v_sub_u16_e32 v28, v18, v0
	v_mov_b32_e32 v0, 6
	v_pack_b32_f16 v10, v57, v56
	v_alignbit_b32 v11, v14, v14, 16
	v_lshlrev_b32_sdwa v35, v0, v28 dst_sel:DWORD dst_unused:UNUSED_PAD src0_sel:DWORD src1_sel:BYTE_0
	ds_write_b128 v21, v[10:13] offset:16
	ds_write_b16 v21, v53 offset:32
	s_waitcnt lgkmcnt(0)
	s_barrier
	global_load_dwordx4 v[0:3], v35, s[4:5]
	global_load_dwordx4 v[4:7], v35, s[4:5] offset:16
	global_load_dwordx4 v[8:11], v35, s[4:5] offset:32
	;; [unrolled: 1-line block ×3, first 2 shown]
	ds_read_u16 v47, v25 offset:816
	ds_read_u16 v48, v25 offset:1020
	;; [unrolled: 1-line block ×4, first 2 shown]
	ds_read_u16 v46, v23
	ds_read_u16 v49, v22
	ds_read_u16 v57, v25 offset:1632
	ds_read_u16 v58, v25 offset:1836
	ds_read_u16 v59, v25 offset:2040
	ds_read_u16 v60, v25 offset:2244
	ds_read_u16 v61, v25 offset:2448
	ds_read_u16 v62, v25 offset:2652
	ds_read_u16 v63, v25 offset:2856
	ds_read_u16 v64, v25 offset:3060
	ds_read_u16 v65, v25 offset:3264
	ds_read_u16 v50, v25 offset:612
	ds_read_u16 v35, v25
	s_waitcnt lgkmcnt(0)
	s_barrier
	s_movk_i32 s0, 0x55
	v_cmp_gt_u32_e64 s[0:1], s0, v18
	s_waitcnt vmcnt(3)
	v_mul_f16_sdwa v51, v46, v0 dst_sel:DWORD dst_unused:UNUSED_PAD src0_sel:DWORD src1_sel:WORD_1
	v_fma_f16 v53, v44, v0, -v51
	v_mul_f16_sdwa v44, v44, v0 dst_sel:DWORD dst_unused:UNUSED_PAD src0_sel:DWORD src1_sel:WORD_1
	v_fma_f16 v54, v46, v0, v44
	v_mul_f16_sdwa v0, v49, v1 dst_sel:DWORD dst_unused:UNUSED_PAD src0_sel:DWORD src1_sel:WORD_1
	v_fma_f16 v51, v45, v1, -v0
	v_mul_f16_sdwa v0, v45, v1 dst_sel:DWORD dst_unused:UNUSED_PAD src0_sel:DWORD src1_sel:WORD_1
	v_fma_f16 v52, v49, v1, v0
	;; [unrolled: 4-line block ×4, first 2 shown]
	s_waitcnt vmcnt(2)
	v_mul_f16_sdwa v0, v48, v4 dst_sel:DWORD dst_unused:UNUSED_PAD src0_sel:DWORD src1_sel:WORD_1
	v_fma_f16 v43, v41, v4, -v0
	v_mul_f16_sdwa v0, v41, v4 dst_sel:DWORD dst_unused:UNUSED_PAD src0_sel:DWORD src1_sel:WORD_1
	v_fma_f16 v45, v48, v4, v0
	v_mul_f16_sdwa v0, v55, v5 dst_sel:DWORD dst_unused:UNUSED_PAD src0_sel:DWORD src1_sel:WORD_1
	v_fma_f16 v41, v40, v5, -v0
	v_mul_f16_sdwa v0, v40, v5 dst_sel:DWORD dst_unused:UNUSED_PAD src0_sel:DWORD src1_sel:WORD_1
	v_fma_f16 v42, v55, v5, v0
	;; [unrolled: 4-line block ×3, first 2 shown]
	v_mul_f16_sdwa v0, v57, v7 dst_sel:DWORD dst_unused:UNUSED_PAD src0_sel:DWORD src1_sel:WORD_1
	v_mul_f16_sdwa v1, v39, v7 dst_sel:DWORD dst_unused:UNUSED_PAD src0_sel:DWORD src1_sel:WORD_1
	s_waitcnt vmcnt(1)
	v_mul_f16_sdwa v2, v58, v8 dst_sel:DWORD dst_unused:UNUSED_PAD src0_sel:DWORD src1_sel:WORD_1
	v_fma_f16 v0, v39, v7, -v0
	v_fma_f16 v1, v57, v7, v1
	v_fma_f16 v7, v37, v8, -v2
	v_mul_f16_sdwa v2, v37, v8 dst_sel:DWORD dst_unused:UNUSED_PAD src0_sel:DWORD src1_sel:WORD_1
	v_fma_f16 v37, v58, v8, v2
	v_mul_f16_sdwa v2, v59, v9 dst_sel:DWORD dst_unused:UNUSED_PAD src0_sel:DWORD src1_sel:WORD_1
	v_fma_f16 v39, v36, v9, -v2
	v_mul_f16_sdwa v2, v36, v9 dst_sel:DWORD dst_unused:UNUSED_PAD src0_sel:DWORD src1_sel:WORD_1
	v_fma_f16 v36, v59, v9, v2
	v_mul_f16_sdwa v2, v60, v10 dst_sel:DWORD dst_unused:UNUSED_PAD src0_sel:DWORD src1_sel:WORD_1
	;; [unrolled: 4-line block ×3, first 2 shown]
	v_fma_f16 v48, v33, v11, -v2
	v_mul_f16_sdwa v2, v33, v11 dst_sel:DWORD dst_unused:UNUSED_PAD src0_sel:DWORD src1_sel:WORD_1
	v_fma_f16 v11, v61, v11, v2
	s_waitcnt vmcnt(0)
	v_mul_f16_sdwa v2, v62, v12 dst_sel:DWORD dst_unused:UNUSED_PAD src0_sel:DWORD src1_sel:WORD_1
	v_fma_f16 v33, v32, v12, -v2
	v_mul_f16_sdwa v2, v32, v12 dst_sel:DWORD dst_unused:UNUSED_PAD src0_sel:DWORD src1_sel:WORD_1
	v_fma_f16 v12, v62, v12, v2
	v_mul_f16_sdwa v2, v63, v13 dst_sel:DWORD dst_unused:UNUSED_PAD src0_sel:DWORD src1_sel:WORD_1
	v_fma_f16 v32, v31, v13, -v2
	v_mul_f16_sdwa v2, v31, v13 dst_sel:DWORD dst_unused:UNUSED_PAD src0_sel:DWORD src1_sel:WORD_1
	v_fma_f16 v31, v63, v13, v2
	;; [unrolled: 4-line block ×4, first 2 shown]
	v_sub_f16_e32 v4, v54, v57
	v_add_f16_e32 v3, v53, v56
	v_mul_f16_e32 v2, 0xbbb2, v4
	v_sub_f16_e32 v29, v52, v30
	v_fma_f16 v5, v3, s6, -v2
	v_fma_f16 v2, v3, s6, v2
	v_add_f16_e32 v15, v51, v55
	v_mul_f16_e32 v58, 0x3836, v29
	v_add_f16_e32 v2, v26, v2
	v_mul_f16_e32 v6, 0xba62, v4
	v_fma_f16 v59, v15, s15, -v58
	v_fma_f16 v58, v15, s15, v58
	v_add_f16_e32 v5, v26, v5
	v_fma_f16 v8, v3, s11, -v6
	v_fma_f16 v6, v3, s11, v6
	v_add_f16_e32 v2, v58, v2
	v_mul_f16_e32 v58, 0x3bb2, v29
	v_add_f16_e32 v6, v26, v6
	v_mul_f16_e32 v9, 0xb836, v4
	v_add_f16_e32 v5, v59, v5
	v_fma_f16 v59, v15, s6, -v58
	v_fma_f16 v58, v15, s6, v58
	v_add_f16_e32 v8, v26, v8
	v_fma_f16 v10, v3, s15, -v9
	v_fma_f16 v9, v3, s15, v9
	v_add_f16_e32 v6, v58, v6
	v_mul_f16_e32 v58, 0x3b29, v29
	v_add_f16_e32 v9, v26, v9
	v_mul_f16_e32 v13, 0xb1e1, v4
	v_add_f16_e32 v8, v59, v8
	v_fma_f16 v59, v15, s7, -v58
	v_fma_f16 v58, v15, s7, v58
	v_add_f16_e32 v10, v26, v10
	v_fma_f16 v14, v3, s12, -v13
	v_add_f16_e32 v9, v58, v9
	v_mul_f16_e32 v58, 0x35c8, v29
	v_add_f16_e32 v14, v26, v14
	v_fma_f16 v13, v3, s12, v13
	v_add_f16_e32 v10, v59, v10
	v_fma_f16 v59, v15, s13, -v58
	v_add_f16_e32 v13, v26, v13
	v_add_f16_e32 v14, v59, v14
	v_fma_f16 v58, v15, s13, v58
	v_sub_f16_e32 v59, v50, v31
	v_add_f16_e32 v13, v58, v13
	v_add_f16_e32 v58, v49, v32
	v_mul_f16_e32 v60, 0x3964, v59
	v_fma_f16 v61, v58, s14, -v60
	v_fma_f16 v60, v58, s14, v60
	v_add_f16_e32 v2, v60, v2
	v_mul_f16_e32 v60, 0xb5c8, v59
	v_add_f16_e32 v5, v61, v5
	v_fma_f16 v61, v58, s13, -v60
	v_fma_f16 v60, v58, s13, v60
	v_add_f16_e32 v6, v60, v6
	v_mul_f16_e32 v60, 0xbbf7, v59
	v_add_f16_e32 v8, v61, v8
	v_fma_f16 v61, v58, s10, -v60
	v_fma_f16 v60, v58, s10, v60
	v_add_f16_e32 v9, v60, v9
	v_mul_f16_e32 v60, 0xb836, v59
	v_add_f16_e32 v10, v61, v10
	v_fma_f16 v61, v58, s15, -v60
	v_add_f16_e32 v14, v61, v14
	v_fma_f16 v60, v58, s15, v60
	v_sub_f16_e32 v61, v47, v12
	v_add_f16_e32 v13, v60, v13
	v_add_f16_e32 v60, v46, v33
	v_mul_f16_e32 v62, 0xbb29, v61
	v_fma_f16 v63, v60, s7, -v62
	v_fma_f16 v62, v60, s7, v62
	v_add_f16_e32 v2, v62, v2
	v_mul_f16_e32 v62, 0xb836, v61
	v_add_f16_e32 v5, v63, v5
	v_fma_f16 v63, v60, s15, -v62
	v_fma_f16 v62, v60, s15, v62
	v_add_f16_e32 v6, v62, v6
	v_mul_f16_e32 v62, 0x3a62, v61
	v_add_f16_e32 v8, v63, v8
	v_fma_f16 v63, v60, s11, -v62
	v_fma_f16 v62, v60, s11, v62
	v_add_f16_e32 v9, v62, v9
	v_mul_f16_e32 v62, 0x3964, v61
	v_add_f16_e32 v10, v63, v10
	v_fma_f16 v63, v60, s14, -v62
	;; [unrolled: 22-line block ×5, first 2 shown]
	v_fma_f16 v2, v66, s6, v2
	v_add_f16_e32 v13, v2, v13
	v_pk_mul_f16 v2, v4, s21 op_sel_hi:[0,1]
	v_add_f16_e32 v14, v69, v14
	v_pk_fma_f16 v69, v3, s16, v2 op_sel_hi:[0,1,1] neg_lo:[0,0,1] neg_hi:[0,0,1]
	v_pk_mul_f16 v71, v29, s23 op_sel_hi:[0,1]
	v_pk_fma_f16 v2, v3, s16, v2 op_sel_hi:[0,1,1]
	v_pk_fma_f16 v72, v15, s17, v71 op_sel_hi:[0,1,1] neg_lo:[0,0,1] neg_hi:[0,0,1]
	v_pk_add_f16 v2, v26, v2 op_sel_hi:[0,1]
	v_pk_fma_f16 v71, v15, s17, v71 op_sel_hi:[0,1,1]
	v_add_f16_e32 v70, v26, v69
	v_add_f16_sdwa v69, v26, v69 dst_sel:DWORD dst_unused:UNUSED_PAD src0_sel:DWORD src1_sel:WORD_1
	v_pk_add_f16 v2, v71, v2
	v_pk_mul_f16 v71, v59, s25 op_sel_hi:[0,1]
	v_add_f16_e32 v70, v72, v70
	v_add_f16_sdwa v69, v72, v69 dst_sel:DWORD dst_unused:UNUSED_PAD src0_sel:WORD_1 src1_sel:DWORD
	v_pk_fma_f16 v72, v58, s18, v71 op_sel_hi:[0,1,1] neg_lo:[0,0,1] neg_hi:[0,0,1]
	v_pk_fma_f16 v71, v58, s18, v71 op_sel_hi:[0,1,1]
	v_pk_add_f16 v2, v71, v2
	v_pk_mul_f16 v71, v61, s26 op_sel_hi:[0,1]
	v_add_f16_e32 v70, v72, v70
	v_add_f16_sdwa v69, v72, v69 dst_sel:DWORD dst_unused:UNUSED_PAD src0_sel:WORD_1 src1_sel:DWORD
	v_pk_fma_f16 v72, v60, s19, v71 op_sel_hi:[0,1,1] neg_lo:[0,0,1] neg_hi:[0,0,1]
	v_pk_fma_f16 v71, v60, s19, v71 op_sel_hi:[0,1,1]
	;; [unrolled: 6-line block ×4, first 2 shown]
	v_pk_add_f16 v2, v71, v2
	v_pk_mul_f16 v71, v67, s39 op_sel_hi:[0,1]
	v_add_f16_e32 v70, v72, v70
	v_add_f16_sdwa v69, v72, v69 dst_sel:DWORD dst_unused:UNUSED_PAD src0_sel:WORD_1 src1_sel:DWORD
	v_pk_fma_f16 v72, v66, s24, v71 op_sel_hi:[0,1,1] neg_lo:[0,0,1] neg_hi:[0,0,1]
	v_add_f16_e32 v70, v72, v70
	v_add_f16_sdwa v69, v72, v69 dst_sel:DWORD dst_unused:UNUSED_PAD src0_sel:WORD_1 src1_sel:DWORD
	v_pk_fma_f16 v71, v66, s24, v71 op_sel_hi:[0,1,1]
	v_sub_f16_e32 v72, v1, v37
	v_pk_add_f16 v2, v71, v2
	v_add_f16_e32 v71, v0, v7
	v_pk_mul_f16 v73, v72, s40 op_sel_hi:[0,1]
	v_pk_fma_f16 v74, v71, s27, v73 op_sel_hi:[0,1,1] neg_lo:[0,0,1] neg_hi:[0,0,1]
	v_pk_fma_f16 v73, v71, s27, v73 op_sel_hi:[0,1,1]
	v_pk_mul_f16 v4, v4, s41 op_sel_hi:[0,1]
	v_pk_add_f16 v2, v73, v2
	v_pk_fma_f16 v73, v3, s28, v4 op_sel_hi:[0,1,1] neg_lo:[0,0,1] neg_hi:[0,0,1]
	v_pk_fma_f16 v3, v3, s28, v4 op_sel_hi:[0,1,1]
	v_pk_mul_f16 v29, v29, s42 op_sel_hi:[0,1]
	v_add_f16_e32 v70, v74, v70
	v_add_f16_sdwa v69, v74, v69 dst_sel:DWORD dst_unused:UNUSED_PAD src0_sel:WORD_1 src1_sel:DWORD
	v_pk_fma_f16 v74, v15, s29, v29 op_sel_hi:[0,1,1] neg_lo:[0,0,1] neg_hi:[0,0,1]
	v_pk_fma_f16 v15, v15, s29, v29 op_sel_hi:[0,1,1]
	v_pk_add_f16 v3, v26, v3 op_sel_hi:[0,1]
	v_pk_add_f16 v3, v15, v3
	v_pk_mul_f16 v15, v59, s43 op_sel_hi:[0,1]
	v_pk_fma_f16 v29, v58, s30, v15 op_sel_hi:[0,1,1] neg_lo:[0,0,1] neg_hi:[0,0,1]
	v_pk_fma_f16 v15, v58, s30, v15 op_sel_hi:[0,1,1]
	v_add_f16_e32 v4, v26, v73
	v_add_f16_sdwa v73, v26, v73 dst_sel:DWORD dst_unused:UNUSED_PAD src0_sel:DWORD src1_sel:WORD_1
	v_pk_add_f16 v3, v15, v3
	v_pk_mul_f16 v15, v61, s44 op_sel_hi:[0,1]
	v_add_f16_e32 v4, v74, v4
	v_add_f16_sdwa v73, v74, v73 dst_sel:DWORD dst_unused:UNUSED_PAD src0_sel:WORD_1 src1_sel:DWORD
	v_pk_fma_f16 v58, v60, s31, v15 op_sel_hi:[0,1,1] neg_lo:[0,0,1] neg_hi:[0,0,1]
	v_pk_fma_f16 v15, v60, s31, v15 op_sel_hi:[0,1,1]
	v_add_f16_e32 v4, v29, v4
	v_add_f16_sdwa v29, v29, v73 dst_sel:DWORD dst_unused:UNUSED_PAD src0_sel:WORD_1 src1_sel:DWORD
	v_pk_add_f16 v3, v15, v3
	v_pk_mul_f16 v15, v63, s45 op_sel_hi:[0,1]
	v_add_f16_e32 v4, v58, v4
	v_add_f16_sdwa v29, v58, v29 dst_sel:DWORD dst_unused:UNUSED_PAD src0_sel:WORD_1 src1_sel:DWORD
	v_pk_fma_f16 v58, v62, s33, v15 op_sel_hi:[0,1,1] neg_lo:[0,0,1] neg_hi:[0,0,1]
	v_pk_fma_f16 v15, v62, s33, v15 op_sel_hi:[0,1,1]
	v_pk_add_f16 v3, v15, v3
	v_pk_mul_f16 v15, v65, s46 op_sel_hi:[0,1]
	v_add_f16_e32 v4, v58, v4
	v_add_f16_sdwa v29, v58, v29 dst_sel:DWORD dst_unused:UNUSED_PAD src0_sel:WORD_1 src1_sel:DWORD
	v_pk_fma_f16 v58, v64, s34, v15 op_sel_hi:[0,1,1] neg_lo:[0,0,1] neg_hi:[0,0,1]
	v_pk_fma_f16 v15, v64, s34, v15 op_sel_hi:[0,1,1]
	v_pk_add_f16 v3, v15, v3
	v_pk_mul_f16 v15, v67, s47 op_sel_hi:[0,1]
	v_add_f16_e32 v26, v26, v53
	v_add_f16_e32 v4, v58, v4
	v_add_f16_sdwa v29, v58, v29 dst_sel:DWORD dst_unused:UNUSED_PAD src0_sel:WORD_1 src1_sel:DWORD
	v_pk_fma_f16 v58, v66, s35, v15 op_sel_hi:[0,1,1] neg_lo:[0,0,1] neg_hi:[0,0,1]
	v_pk_fma_f16 v15, v66, s35, v15 op_sel_hi:[0,1,1]
	v_add_f16_e32 v26, v26, v51
	v_pk_add_f16 v3, v15, v3
	v_pk_mul_f16 v15, v72, s48 op_sel_hi:[0,1]
	v_add_f16_e32 v26, v26, v49
	v_add_f16_e32 v4, v58, v4
	v_add_f16_sdwa v29, v58, v29 dst_sel:DWORD dst_unused:UNUSED_PAD src0_sel:WORD_1 src1_sel:DWORD
	v_pk_fma_f16 v58, v71, s37, v15 op_sel_hi:[0,1,1] neg_lo:[0,0,1] neg_hi:[0,0,1]
	v_add_f16_e32 v26, v26, v46
	v_add_f16_e32 v59, v58, v4
	v_pk_fma_f16 v4, v71, s37, v15 op_sel_hi:[0,1,1]
	v_add_f16_e32 v26, v26, v43
	v_pk_add_f16 v4, v4, v3
	v_mul_f16_e32 v3, 0xba62, v72
	v_add_f16_e32 v26, v26, v41
	v_fma_f16 v15, v71, s11, -v3
	v_add_f16_e32 v26, v26, v40
	v_add_f16_e32 v5, v15, v5
	v_mul_f16_e32 v15, 0x3b29, v72
	v_add_f16_e32 v26, v26, v0
	v_add_f16_sdwa v29, v58, v29 dst_sel:DWORD dst_unused:UNUSED_PAD src0_sel:WORD_1 src1_sel:DWORD
	v_fma_f16 v58, v71, s7, -v15
	v_fma_f16 v15, v71, s7, v15
	v_add_f16_e32 v26, v26, v7
	v_add_f16_e32 v6, v15, v6
	v_mul_f16_e32 v15, 0xbbb2, v72
	v_add_f16_e32 v26, v26, v39
	v_add_f16_e32 v8, v58, v8
	v_fma_f16 v58, v71, s6, -v15
	v_fma_f16 v15, v71, s6, v15
	v_add_f16_e32 v26, v26, v44
	v_add_f16_e32 v9, v15, v9
	v_mul_f16_e32 v15, 0x3bf7, v72
	v_add_f16_e32 v26, v26, v48
	v_add_f16_e32 v10, v58, v10
	v_fma_f16 v58, v71, s10, -v15
	v_add_f16_e32 v26, v26, v33
	v_fma_f16 v15, v71, s10, v15
	v_add_f16_e32 v26, v26, v32
	v_add_f16_e32 v13, v15, v13
	v_mul_u32_u24_e32 v15, 0x242, v27
	v_mov_b32_e32 v27, 1
	v_add_f16_e32 v26, v26, v55
	v_lshlrev_b32_sdwa v27, v27, v28 dst_sel:DWORD dst_unused:UNUSED_PAD src0_sel:DWORD src1_sel:BYTE_0
	v_fma_f16 v3, v71, s11, v3
	v_add_f16_e32 v14, v58, v14
	v_add_f16_e32 v26, v26, v56
	v_add3_u32 v58, 0, v15, v27
	v_add_f16_e32 v3, v3, v68
	ds_write_b16 v58, v26
	ds_write_b16 v58, v70 offset:34
	ds_write_b16 v58, v69 offset:68
	;; [unrolled: 1-line block ×12, first 2 shown]
	ds_write_b16_d16_hi v58, v4 offset:442
	ds_write_b16 v58, v4 offset:476
	ds_write_b16_d16_hi v58, v2 offset:510
	ds_write_b16 v58, v2 offset:544
	s_waitcnt lgkmcnt(0)
	s_barrier
	ds_read_u16 v14, v25 offset:2312
	ds_read_u16 v26, v25 offset:1938
	;; [unrolled: 1-line block ×7, first 2 shown]
	ds_read_u16 v6, v25
	ds_read_u16 v13, v23
	ds_read_u16 v29, v25 offset:3094
	ds_read_u16 v10, v25 offset:2890
	;; [unrolled: 1-line block ×3, first 2 shown]
	v_sub_u32_e32 v5, 0, v24
	v_add_u32_e32 v59, v21, v5
                                        ; implicit-def: $vgpr5
	s_and_saveexec_b64 s[2:3], s[0:1]
	s_cbranch_execz .LBB0_15
; %bb.14:
	ds_read_u16 v2, v59 offset:2142
	ds_read_u16 v4, v59 offset:2720
	ds_read_u16 v3, v22
	ds_read_u16 v21, v59 offset:986
	ds_read_u16 v24, v59 offset:1564
	;; [unrolled: 1-line block ×3, first 2 shown]
	s_mov_b32 s49, 0x5040100
	s_waitcnt lgkmcnt(4)
	v_perm_b32 v2, v2, v4, s49
	s_waitcnt lgkmcnt(1)
	v_perm_b32 v4, v21, v24, s49
.LBB0_15:
	s_or_b64 exec, exec, s[2:3]
	v_add_f16_e32 v21, v35, v54
	v_add_f16_e32 v21, v21, v52
	;; [unrolled: 1-line block ×13, first 2 shown]
	v_sub_f16_e32 v53, v53, v56
	v_add_f16_e32 v21, v21, v31
	v_add_f16_e32 v24, v54, v57
	v_mul_f16_e32 v54, 0xbbb2, v53
	v_sub_f16_e32 v51, v51, v55
	v_add_f16_e32 v21, v21, v30
	v_fma_f16 v56, v24, s6, v54
	v_fma_f16 v54, v24, s6, -v54
	v_add_f16_e32 v30, v52, v30
	v_mul_f16_e32 v52, 0x3836, v51
	v_sub_f16_e32 v32, v49, v32
	v_add_f16_e32 v21, v21, v57
	v_add_f16_e32 v54, v35, v54
	v_mul_f16_e32 v57, 0xba62, v53
	v_fma_f16 v55, v30, s15, v52
	v_fma_f16 v52, v30, s15, -v52
	v_add_f16_e32 v31, v50, v31
	v_mul_f16_e32 v49, 0x3964, v32
	v_sub_f16_e32 v33, v46, v33
	v_add_f16_e32 v56, v35, v56
	v_fma_f16 v60, v24, s11, v57
	v_fma_f16 v57, v24, s11, -v57
	v_add_f16_e32 v52, v52, v54
	v_mul_f16_e32 v54, 0x3bb2, v51
	v_fma_f16 v50, v31, s14, v49
	v_fma_f16 v49, v31, s14, -v49
	v_add_f16_e32 v12, v47, v12
	v_mul_f16_e32 v46, 0xbb29, v33
	v_sub_f16_e32 v43, v43, v48
	v_add_f16_e32 v57, v35, v57
	v_mul_f16_e32 v61, 0xb836, v53
	v_add_f16_e32 v55, v55, v56
	v_fma_f16 v56, v30, s6, v54
	v_fma_f16 v54, v30, s6, -v54
	v_add_f16_e32 v49, v49, v52
	v_mul_f16_e32 v52, 0xb5c8, v32
	v_fma_f16 v47, v12, s7, v46
	v_fma_f16 v46, v12, s7, -v46
	v_add_f16_e32 v11, v45, v11
	v_mul_f16_e32 v45, 0xb1e1, v43
	v_sub_f16_e32 v41, v41, v44
	v_add_f16_e32 v60, v35, v60
	v_fma_f16 v62, v24, s15, v61
	v_fma_f16 v61, v24, s15, -v61
	v_add_f16_e32 v54, v54, v57
	v_mul_f16_e32 v57, 0x3b29, v51
	v_add_f16_e32 v50, v50, v55
	v_fma_f16 v55, v31, s13, v52
	v_fma_f16 v52, v31, s13, -v52
	v_add_f16_e32 v46, v46, v49
	v_mul_f16_e32 v49, 0xb836, v33
	v_fma_f16 v48, v11, s12, v45
	v_fma_f16 v45, v11, s12, -v45
	v_add_f16_e32 v34, v42, v34
	v_mul_f16_e32 v42, 0x3bf7, v41
	v_add_f16_e32 v36, v38, v36
	v_sub_f16_e32 v38, v40, v39
	v_add_f16_e32 v61, v35, v61
	v_mul_f16_e32 v63, 0xb1e1, v53
	v_add_f16_e32 v56, v56, v60
	v_fma_f16 v60, v30, s7, v57
	v_fma_f16 v57, v30, s7, -v57
	v_add_f16_e32 v52, v52, v54
	v_mul_f16_e32 v54, 0xbbf7, v32
	v_add_f16_e32 v47, v47, v50
	v_fma_f16 v50, v12, s15, v49
	v_fma_f16 v49, v12, s15, -v49
	v_add_f16_e32 v45, v45, v46
	v_mul_f16_e32 v46, 0x3bf7, v43
	v_fma_f16 v44, v34, s10, v42
	v_fma_f16 v42, v34, s10, -v42
	v_mul_f16_e32 v39, 0xb5c8, v38
	v_add_f16_e32 v62, v35, v62
	v_fma_f16 v64, v24, s12, v63
	v_add_f16_e32 v57, v57, v61
	v_mul_f16_e32 v61, 0x35c8, v51
	v_add_f16_e32 v55, v55, v56
	v_fma_f16 v56, v31, s10, v54
	v_fma_f16 v54, v31, s10, -v54
	v_add_f16_e32 v49, v49, v52
	v_mul_f16_e32 v52, 0x3a62, v33
	v_add_f16_e32 v47, v48, v47
	v_fma_f16 v48, v11, s10, v46
	v_fma_f16 v46, v11, s10, -v46
	v_add_f16_e32 v42, v42, v45
	v_mul_f16_e32 v45, 0xb964, v41
	v_fma_f16 v40, v36, s13, v39
	v_fma_f16 v39, v36, s13, -v39
	v_add_f16_e32 v64, v35, v64
	v_add_f16_e32 v60, v60, v62
	v_fma_f16 v62, v30, s13, v61
	v_add_f16_e32 v54, v54, v57
	v_mul_f16_e32 v57, 0xb836, v32
	v_add_f16_e32 v50, v50, v55
	v_fma_f16 v55, v12, s11, v52
	v_fma_f16 v52, v12, s11, -v52
	v_add_f16_e32 v46, v46, v49
	v_mul_f16_e32 v49, 0xb5c8, v43
	v_add_f16_e32 v44, v44, v47
	v_fma_f16 v47, v34, s14, v45
	v_fma_f16 v45, v34, s14, -v45
	v_add_f16_e32 v39, v39, v42
	v_mul_f16_e32 v42, 0xb1e1, v38
	v_fma_f16 v63, v24, s12, -v63
	v_add_f16_e32 v62, v62, v64
	v_add_f16_e32 v56, v56, v60
	v_fma_f16 v60, v31, s15, v57
	v_add_f16_e32 v52, v52, v54
	v_mul_f16_e32 v54, 0x3964, v33
	v_add_f16_e32 v48, v48, v50
	v_fma_f16 v50, v11, s13, v49
	v_fma_f16 v49, v11, s13, -v49
	v_add_f16_e32 v45, v45, v46
	v_mul_f16_e32 v46, 0xb1e1, v41
	v_add_f16_e32 v40, v40, v44
	v_fma_f16 v44, v36, s12, v42
	v_fma_f16 v42, v36, s12, -v42
	v_add_f16_e32 v63, v35, v63
	v_fma_f16 v61, v30, s13, -v61
	v_add_f16_e32 v60, v60, v62
	v_add_f16_e32 v55, v55, v56
	v_fma_f16 v56, v12, s14, v54
	v_add_f16_e32 v49, v49, v52
	v_mul_f16_e32 v52, 0xba62, v43
	v_add_f16_e32 v47, v47, v48
	v_fma_f16 v48, v34, s12, v46
	v_fma_f16 v46, v34, s12, -v46
	v_add_f16_e32 v42, v42, v45
	v_mul_f16_e32 v45, 0x3964, v38
	v_add_f16_e32 v61, v61, v63
	v_fma_f16 v57, v31, s15, -v57
	v_add_f16_e32 v56, v56, v60
	v_add_f16_e32 v50, v50, v55
	v_fma_f16 v55, v11, s11, v52
	v_add_f16_e32 v46, v46, v49
	v_mul_f16_e32 v49, 0x3b29, v41
	v_add_f16_e32 v44, v44, v47
	v_fma_f16 v47, v36, s14, v45
	v_fma_f16 v45, v36, s14, -v45
	v_add_f16_e32 v57, v57, v61
	v_fma_f16 v54, v12, s14, -v54
	v_add_f16_e32 v55, v55, v56
	v_add_f16_e32 v48, v48, v50
	v_fma_f16 v50, v34, s7, v49
	v_add_f16_e32 v45, v45, v46
	v_mul_f16_e32 v46, 0xbbb2, v38
	v_add_f16_e32 v54, v54, v57
	v_fma_f16 v52, v11, s11, -v52
	v_add_f16_e32 v50, v50, v55
	v_add_f16_e32 v47, v47, v48
	v_fma_f16 v48, v36, s6, v46
	v_sub_f16_e32 v0, v0, v7
	v_pk_mul_f16 v7, v53, s21 op_sel_hi:[0,1]
	v_add_f16_e32 v52, v52, v54
	v_fma_f16 v49, v34, s7, -v49
	v_add_f16_e32 v48, v48, v50
	v_add_f16_e32 v1, v1, v37
	v_pk_fma_f16 v37, v24, s16, v7 op_sel_hi:[0,1,1]
	v_pk_fma_f16 v7, v24, s16, v7 op_sel_hi:[0,1,1] neg_lo:[0,0,1] neg_hi:[0,0,1]
	v_pk_mul_f16 v50, v51, s23 op_sel_hi:[0,1]
	v_add_f16_e32 v49, v49, v52
	v_fma_f16 v46, v36, s6, -v46
	v_pk_add_f16 v7, v35, v7 op_sel_hi:[0,1]
	v_pk_fma_f16 v52, v30, s17, v50 op_sel_hi:[0,1,1]
	v_pk_fma_f16 v50, v30, s17, v50 op_sel_hi:[0,1,1] neg_lo:[0,0,1] neg_hi:[0,0,1]
	v_add_f16_e32 v46, v46, v49
	v_add_f16_e32 v49, v35, v37
	v_add_f16_sdwa v37, v35, v37 dst_sel:DWORD dst_unused:UNUSED_PAD src0_sel:DWORD src1_sel:WORD_1
	v_pk_add_f16 v7, v50, v7
	v_pk_mul_f16 v50, v32, s25 op_sel_hi:[0,1]
	v_add_f16_e32 v49, v52, v49
	v_add_f16_sdwa v37, v52, v37 dst_sel:DWORD dst_unused:UNUSED_PAD src0_sel:WORD_1 src1_sel:DWORD
	v_pk_fma_f16 v52, v31, s18, v50 op_sel_hi:[0,1,1]
	v_pk_fma_f16 v50, v31, s18, v50 op_sel_hi:[0,1,1] neg_lo:[0,0,1] neg_hi:[0,0,1]
	v_pk_add_f16 v7, v50, v7
	v_pk_mul_f16 v50, v33, s26 op_sel_hi:[0,1]
	v_add_f16_e32 v49, v52, v49
	v_add_f16_sdwa v37, v52, v37 dst_sel:DWORD dst_unused:UNUSED_PAD src0_sel:WORD_1 src1_sel:DWORD
	v_pk_fma_f16 v52, v12, s19, v50 op_sel_hi:[0,1,1]
	v_pk_fma_f16 v50, v12, s19, v50 op_sel_hi:[0,1,1] neg_lo:[0,0,1] neg_hi:[0,0,1]
	;; [unrolled: 6-line block ×7, first 2 shown]
	v_add_f16_e32 v53, v35, v52
	v_add_f16_sdwa v52, v35, v52 dst_sel:DWORD dst_unused:UNUSED_PAD src0_sel:DWORD src1_sel:WORD_1
	v_pk_add_f16 v24, v35, v24 op_sel_hi:[0,1]
	v_pk_mul_f16 v35, v51, s42 op_sel_hi:[0,1]
	v_pk_fma_f16 v50, v30, s29, v35 op_sel_hi:[0,1,1]
	v_pk_fma_f16 v30, v30, s29, v35 op_sel_hi:[0,1,1] neg_lo:[0,0,1] neg_hi:[0,0,1]
	v_pk_add_f16 v24, v30, v24
	v_pk_mul_f16 v30, v32, s43 op_sel_hi:[0,1]
	v_pk_fma_f16 v32, v31, s30, v30 op_sel_hi:[0,1,1]
	v_pk_fma_f16 v30, v31, s30, v30 op_sel_hi:[0,1,1] neg_lo:[0,0,1] neg_hi:[0,0,1]
	v_pk_add_f16 v24, v30, v24
	;; [unrolled: 4-line block ×3, first 2 shown]
	v_pk_mul_f16 v24, v43, s45 op_sel_hi:[0,1]
	v_add_f16_e32 v51, v50, v53
	v_add_f16_sdwa v50, v50, v52 dst_sel:DWORD dst_unused:UNUSED_PAD src0_sel:WORD_1 src1_sel:DWORD
	v_pk_fma_f16 v30, v11, s33, v24 op_sel_hi:[0,1,1]
	v_pk_fma_f16 v11, v11, s33, v24 op_sel_hi:[0,1,1] neg_lo:[0,0,1] neg_hi:[0,0,1]
	v_add_f16_e32 v35, v32, v51
	v_add_f16_sdwa v32, v32, v50 dst_sel:DWORD dst_unused:UNUSED_PAD src0_sel:WORD_1 src1_sel:DWORD
	v_pk_add_f16 v11, v11, v12
	v_pk_mul_f16 v12, v41, s46 op_sel_hi:[0,1]
	v_add_f16_e32 v33, v31, v35
	v_add_f16_sdwa v31, v31, v32 dst_sel:DWORD dst_unused:UNUSED_PAD src0_sel:WORD_1 src1_sel:DWORD
	v_pk_fma_f16 v24, v34, s34, v12 op_sel_hi:[0,1,1]
	v_pk_fma_f16 v12, v34, s34, v12 op_sel_hi:[0,1,1] neg_lo:[0,0,1] neg_hi:[0,0,1]
	v_add_f16_e32 v32, v30, v33
	v_add_f16_sdwa v30, v30, v31 dst_sel:DWORD dst_unused:UNUSED_PAD src0_sel:WORD_1 src1_sel:DWORD
	v_pk_add_f16 v11, v12, v11
	v_pk_mul_f16 v12, v38, s47 op_sel_hi:[0,1]
	v_add_f16_e32 v31, v24, v32
	v_add_f16_sdwa v24, v24, v30 dst_sel:DWORD dst_unused:UNUSED_PAD src0_sel:WORD_1 src1_sel:DWORD
	v_pk_fma_f16 v30, v36, s35, v12 op_sel_hi:[0,1,1]
	v_pk_fma_f16 v12, v36, s35, v12 op_sel_hi:[0,1,1] neg_lo:[0,0,1] neg_hi:[0,0,1]
	v_pk_add_f16 v11, v12, v11
	v_pk_mul_f16 v12, v0, s48 op_sel_hi:[0,1]
	v_add_f16_e32 v31, v30, v31
	v_add_f16_sdwa v24, v30, v24 dst_sel:DWORD dst_unused:UNUSED_PAD src0_sel:WORD_1 src1_sel:DWORD
	v_pk_fma_f16 v30, v1, s37, v12 op_sel_hi:[0,1,1]
	v_pk_fma_f16 v12, v1, s37, v12 op_sel_hi:[0,1,1] neg_lo:[0,0,1] neg_hi:[0,0,1]
	v_pk_add_f16 v12, v12, v11
	v_mul_f16_e32 v11, 0xba62, v0
	v_mul_f16_e32 v32, 0x3b29, v0
	;; [unrolled: 1-line block ×4, first 2 shown]
	v_add_f16_e32 v31, v30, v31
	v_add_f16_sdwa v24, v30, v24 dst_sel:DWORD dst_unused:UNUSED_PAD src0_sel:WORD_1 src1_sel:DWORD
	v_fma_f16 v30, v1, s11, v11
	v_fma_f16 v11, v1, s11, -v11
	v_fma_f16 v33, v1, s7, v32
	v_fma_f16 v32, v1, s7, -v32
	;; [unrolled: 2-line block ×4, first 2 shown]
	v_add_f16_e32 v30, v30, v40
	v_add_f16_e32 v11, v11, v39
	;; [unrolled: 1-line block ×8, first 2 shown]
	s_waitcnt lgkmcnt(0)
	s_barrier
	ds_write_b16 v58, v21
	ds_write_b16 v58, v49 offset:34
	ds_write_b16 v58, v37 offset:68
	;; [unrolled: 1-line block ×12, first 2 shown]
	v_lshrrev_b32_e32 v21, 16, v12
	v_lshrrev_b32_e32 v24, 16, v7
	ds_write_b16 v58, v21 offset:442
	ds_write_b16 v58, v12 offset:476
	;; [unrolled: 1-line block ×4, first 2 shown]
	s_waitcnt lgkmcnt(0)
	s_barrier
	ds_read_u16 v31, v59 offset:578
	ds_read_u16 v35, v59 offset:2312
	;; [unrolled: 1-line block ×7, first 2 shown]
	ds_read_u16 v30, v59
	ds_read_u16 v34, v23
	ds_read_u16 v40, v59 offset:3094
	ds_read_u16 v33, v59 offset:2890
	;; [unrolled: 1-line block ×3, first 2 shown]
                                        ; implicit-def: $vgpr23
	s_and_saveexec_b64 s[2:3], s[0:1]
	s_cbranch_execz .LBB0_17
; %bb.16:
	ds_read_u16 v11, v22
	ds_read_u16 v21, v59 offset:986
	ds_read_u16 v12, v59 offset:1564
	;; [unrolled: 1-line block ×5, first 2 shown]
.LBB0_17:
	s_or_b64 exec, exec, s[2:3]
	s_and_saveexec_b64 s[2:3], vcc
	s_cbranch_execz .LBB0_20
; %bb.18:
	v_mul_i32_i24_e32 v0, 5, v20
	v_mov_b32_e32 v1, 0
	v_lshl_add_u64 v[46:47], v[0:1], 2, s[4:5]
	global_load_dwordx4 v[42:45], v[46:47], off offset:1088
	global_load_dword v0, v[46:47], off offset:1104
	v_mul_u32_u24_e32 v20, 5, v18
	v_lshlrev_b32_e32 v20, 2, v20
	global_load_dwordx4 v[46:49], v20, s[4:5] offset:1088
	s_movk_i32 s3, 0x3aee
	global_load_dword v20, v20, s[4:5] offset:1104
	s_mov_b32 s2, 0xbaee
	s_waitcnt vmcnt(3) lgkmcnt(9)
	v_mul_f16_sdwa v54, v37, v44 dst_sel:DWORD dst_unused:UNUSED_PAD src0_sel:DWORD src1_sel:WORD_1
	s_waitcnt vmcnt(2) lgkmcnt(2)
	v_mul_f16_sdwa v55, v40, v0 dst_sel:DWORD dst_unused:UNUSED_PAD src0_sel:DWORD src1_sel:WORD_1
	v_mul_f16_sdwa v56, v26, v44 dst_sel:DWORD dst_unused:UNUSED_PAD src0_sel:DWORD src1_sel:WORD_1
	;; [unrolled: 1-line block ×4, first 2 shown]
	s_waitcnt lgkmcnt(0)
	v_mul_f16_sdwa v50, v41, v45 dst_sel:DWORD dst_unused:UNUSED_PAD src0_sel:DWORD src1_sel:WORD_1
	v_mul_f16_sdwa v51, v28, v43 dst_sel:DWORD dst_unused:UNUSED_PAD src0_sel:DWORD src1_sel:WORD_1
	;; [unrolled: 1-line block ×5, first 2 shown]
	v_fma_f16 v26, v26, v44, -v54
	v_fma_f16 v29, v29, v0, -v55
	v_fma_f16 v37, v37, v44, v56
	v_fma_f16 v0, v40, v0, v57
	s_waitcnt vmcnt(1)
	v_mul_f16_sdwa v59, v36, v47 dst_sel:DWORD dst_unused:UNUSED_PAD src0_sel:DWORD src1_sel:WORD_1
	v_mul_f16_sdwa v60, v35, v49 dst_sel:DWORD dst_unused:UNUSED_PAD src0_sel:DWORD src1_sel:WORD_1
	;; [unrolled: 1-line block ×4, first 2 shown]
	v_fma_f16 v22, v28, v43, -v22
	v_fma_f16 v25, v25, v45, -v50
	v_fma_f16 v28, v39, v43, v51
	v_fma_f16 v39, v41, v45, v52
	v_fma_f16 v27, v27, v42, -v53
	v_fma_f16 v38, v38, v42, v58
	v_add_f16_e32 v42, v26, v29
	v_add_f16_e32 v45, v37, v0
	v_fma_f16 v15, v15, v47, -v59
	v_fma_f16 v14, v14, v49, -v60
	v_fma_f16 v36, v36, v47, v61
	v_fma_f16 v35, v35, v49, v62
	v_sub_f16_e32 v40, v22, v25
	v_add_f16_e32 v41, v28, v39
	v_sub_f16_e32 v43, v37, v0
	v_sub_f16_e32 v44, v26, v29
	v_add_f16_e32 v47, v34, v28
	v_add_f16_e32 v37, v38, v37
	v_add_f16_e32 v49, v22, v25
	v_add_f16_e32 v22, v13, v22
	v_add_f16_e32 v26, v27, v26
	v_fma_f16 v27, v42, -0.5, v27
	v_fma_f16 v38, v45, -0.5, v38
	v_sub_f16_e32 v28, v28, v39
	v_fma_f16 v34, v41, -0.5, v34
	v_add_f16_e32 v39, v47, v39
	v_add_f16_e32 v0, v37, v0
	v_fma_f16 v13, v49, -0.5, v13
	v_add_f16_e32 v22, v22, v25
	v_add_f16_e32 v25, v26, v29
	v_fma_f16 v37, v43, s2, v27
	v_fma_f16 v41, v44, s3, v38
	;; [unrolled: 1-line block ×6, first 2 shown]
	v_sub_f16_e32 v40, v39, v0
	v_fma_f16 v42, v28, s2, v13
	v_fma_f16 v13, v28, s3, v13
	v_sub_f16_e32 v28, v22, v25
	v_add_f16_e32 v39, v39, v0
	v_add_f16_e32 v22, v22, v25
	v_mul_f16_e32 v0, -0.5, v41
	v_mul_f16_e32 v25, 0xbaee, v27
	v_mul_f16_e32 v43, -0.5, v37
	v_mul_f16_e32 v44, 0x3aee, v38
	v_fma_f16 v0, v37, s2, v0
	v_fma_f16 v25, v38, 0.5, v25
	v_fma_f16 v37, v41, s3, v43
	v_fma_f16 v27, v27, 0.5, v44
	v_sub_f16_e32 v41, v34, v25
	v_sub_f16_e32 v43, v42, v37
	v_add_f16_e32 v25, v34, v25
	v_add_f16_e32 v34, v42, v37
	v_mul_f16_sdwa v37, v32, v48 dst_sel:DWORD dst_unused:UNUSED_PAD src0_sel:DWORD src1_sel:WORD_1
	s_waitcnt vmcnt(0)
	v_mul_f16_sdwa v42, v33, v20 dst_sel:DWORD dst_unused:UNUSED_PAD src0_sel:DWORD src1_sel:WORD_1
	v_sub_f16_e32 v44, v13, v27
	v_add_f16_e32 v13, v13, v27
	v_mul_f16_sdwa v27, v31, v46 dst_sel:DWORD dst_unused:UNUSED_PAD src0_sel:DWORD src1_sel:WORD_1
	v_fma_f16 v37, v9, v48, -v37
	v_fma_f16 v42, v10, v20, -v42
	v_mul_f16_sdwa v9, v9, v48 dst_sel:DWORD dst_unused:UNUSED_PAD src0_sel:DWORD src1_sel:WORD_1
	v_mul_f16_sdwa v10, v10, v20 dst_sel:DWORD dst_unused:UNUSED_PAD src0_sel:DWORD src1_sel:WORD_1
	v_fma_f16 v27, v8, v46, -v27
	v_add_f16_e32 v45, v37, v42
	v_fma_f16 v9, v32, v48, v9
	v_fma_f16 v10, v33, v20, v10
	v_mul_f16_sdwa v8, v8, v46 dst_sel:DWORD dst_unused:UNUSED_PAD src0_sel:DWORD src1_sel:WORD_1
	v_fma_f16 v45, v45, -0.5, v27
	v_sub_f16_e32 v20, v9, v10
	v_fma_f16 v8, v31, v46, v8
	v_add_f16_e32 v31, v9, v10
	v_add_f16_e32 v51, v36, v35
	v_fma_f16 v32, v20, s2, v45
	v_sub_f16_e32 v33, v37, v42
	v_fma_f16 v31, v31, -0.5, v8
	v_fma_f16 v20, v20, s3, v45
	v_fma_f16 v26, v51, -0.5, v30
	v_fma_f16 v46, v33, s3, v31
	v_fma_f16 v31, v33, s2, v31
	v_mul_f16_e32 v33, 0xbaee, v20
	v_add_f16_e32 v30, v30, v36
	v_add_f16_e32 v8, v8, v9
	;; [unrolled: 1-line block ×3, first 2 shown]
	v_fma_f16 v33, v31, 0.5, v33
	v_add_f16_e32 v30, v30, v35
	v_fma_f16 v9, v9, -0.5, v6
	v_sub_f16_e32 v35, v36, v35
	v_mul_f16_e32 v31, 0x3aee, v31
	v_sub_f16_e32 v50, v15, v14
	v_mul_f16_e32 v47, -0.5, v46
	v_add_f16_e32 v8, v8, v10
	v_fma_f16 v36, v35, s2, v9
	v_fma_f16 v9, v35, s3, v9
	v_fma_f16 v20, v20, 0.5, v31
	v_add_f16_e32 v6, v6, v15
	v_sub_f16_e32 v38, v29, v0
	v_add_f16_e32 v29, v29, v0
	v_fma_f16 v0, v50, s3, v26
	v_fma_f16 v47, v32, s2, v47
	v_sub_f16_e32 v10, v30, v8
	v_sub_f16_e32 v31, v9, v20
	v_add_f16_e32 v6, v6, v14
	v_add_f16_e32 v14, v27, v37
	;; [unrolled: 1-line block ×4, first 2 shown]
	v_mad_u64_u32 v[8:9], s[6:7], s8, v18, 0
	v_sub_f16_e32 v48, v0, v47
	v_add_f16_e32 v14, v14, v42
	v_add_f16_e32 v35, v0, v47
	v_mov_b32_e32 v0, v9
	v_sub_f16_e32 v27, v6, v14
	v_add_f16_e32 v6, v6, v14
	v_mad_u64_u32 v[14:15], s[6:7], s9, v18, v[0:1]
	v_mov_b32_e32 v9, v14
	v_lshl_add_u64 v[8:9], v[8:9], 2, v[16:17]
	v_pack_b32_f16 v0, v6, v30
	v_add_u32_e32 v6, 0x121, v18
	global_store_dword v[8:9], v0, off
	v_mad_u64_u32 v[8:9], s[6:7], s8, v6, 0
	v_mov_b32_e32 v0, v9
	v_fma_f16 v26, v50, s2, v26
	v_mad_u64_u32 v[14:15], s[6:7], s9, v6, v[0:1]
	v_sub_f16_e32 v45, v26, v33
	v_add_f16_e32 v26, v26, v33
	v_mov_b32_e32 v9, v14
	v_lshl_add_u64 v[8:9], v[8:9], 2, v[16:17]
	v_pack_b32_f16 v0, v20, v26
	v_add_u32_e32 v6, 0x242, v18
	global_store_dword v[8:9], v0, off
	v_mad_u64_u32 v[8:9], s[6:7], s8, v6, 0
	v_mul_f16_e32 v32, -0.5, v32
	v_mov_b32_e32 v0, v9
	v_fma_f16 v32, v46, s3, v32
	v_mad_u64_u32 v[14:15], s[6:7], s9, v6, v[0:1]
	v_sub_f16_e32 v46, v36, v32
	v_add_f16_e32 v32, v36, v32
	v_mov_b32_e32 v9, v14
	v_lshl_add_u64 v[8:9], v[8:9], 2, v[16:17]
	v_pack_b32_f16 v0, v32, v35
	v_add_u32_e32 v6, 0x363, v18
	global_store_dword v[8:9], v0, off
	v_mad_u64_u32 v[8:9], s[6:7], s8, v6, 0
	v_mov_b32_e32 v0, v9
	v_mad_u64_u32 v[14:15], s[6:7], s9, v6, v[0:1]
	v_mov_b32_e32 v9, v14
	v_lshl_add_u64 v[8:9], v[8:9], 2, v[16:17]
	v_pack_b32_f16 v0, v27, v10
	v_add_u32_e32 v6, 0x484, v18
	global_store_dword v[8:9], v0, off
	v_mad_u64_u32 v[8:9], s[6:7], s8, v6, 0
	v_mov_b32_e32 v0, v9
	v_mad_u64_u32 v[14:15], s[6:7], s9, v6, v[0:1]
	;; [unrolled: 8-line block ×9, first 2 shown]
	v_mov_b32_e32 v9, v14
	v_lshl_add_u64 v[8:9], v[8:9], 2, v[16:17]
	v_pack_b32_f16 v0, v43, v38
	global_store_dword v[8:9], v0, off
	s_and_b64 exec, exec, s[0:1]
	s_cbranch_execz .LBB0_20
; %bb.19:
	v_add_u32_e32 v0, 0xffffffab, v18
	v_cndmask_b32_e64 v0, v0, v19, s[0:1]
	v_mul_i32_i24_e32 v0, 5, v0
	v_lshl_add_u64 v[0:1], v[0:1], 2, s[4:5]
	global_load_dwordx4 v[26:29], v[0:1], off offset:1088
	global_load_dword v13, v[0:1], off offset:1104
	v_add_u32_e32 v14, 0xcc, v18
	v_add_u32_e32 v22, 0x1ed, v18
	v_mad_u64_u32 v[0:1], s[0:1], s8, v14, 0
	v_mad_u64_u32 v[8:9], s[0:1], s8, v22, 0
	v_mov_b32_e32 v6, v1
	v_mov_b32_e32 v10, v9
	v_lshrrev_b32_e32 v19, 16, v4
	v_lshrrev_b32_e32 v20, 16, v2
	v_mad_u64_u32 v[14:15], s[0:1], s9, v14, v[6:7]
	v_mad_u64_u32 v[30:31], s[0:1], s9, v22, v[10:11]
	v_mov_b32_e32 v1, v14
	v_lshl_add_u64 v[0:1], v[0:1], 2, v[16:17]
	s_waitcnt vmcnt(1)
	v_mul_f16_sdwa v9, v19, v26 dst_sel:DWORD dst_unused:UNUSED_PAD src0_sel:DWORD src1_sel:WORD_1
	v_mul_f16_sdwa v10, v12, v27 dst_sel:DWORD dst_unused:UNUSED_PAD src0_sel:DWORD src1_sel:WORD_1
	;; [unrolled: 1-line block ×6, first 2 shown]
	s_waitcnt vmcnt(0)
	v_mul_f16_sdwa v32, v23, v13 dst_sel:DWORD dst_unused:UNUSED_PAD src0_sel:DWORD src1_sel:WORD_1
	v_mul_f16_sdwa v33, v5, v13 dst_sel:DWORD dst_unused:UNUSED_PAD src0_sel:DWORD src1_sel:WORD_1
	;; [unrolled: 1-line block ×4, first 2 shown]
	v_fma_f16 v9, v21, v26, v9
	v_fma_f16 v4, v4, v27, -v10
	v_fma_f16 v10, v12, v27, v14
	v_fma_f16 v12, v20, v28, -v15
	v_fma_f16 v14, v24, v28, v22
	v_fma_f16 v7, v7, v29, v31
	v_fma_f16 v5, v5, v13, -v32
	v_fma_f16 v13, v23, v13, v33
	v_fma_f16 v6, v19, v26, -v6
	v_fma_f16 v2, v2, v29, -v25
	v_sub_f16_e32 v20, v10, v7
	v_add_f16_e32 v21, v11, v10
	v_add_f16_e32 v10, v10, v7
	;; [unrolled: 1-line block ×3, first 2 shown]
	v_sub_f16_e32 v24, v14, v13
	v_add_f16_e32 v25, v9, v14
	v_add_f16_e32 v14, v14, v13
	v_add_f16_e32 v15, v3, v4
	v_add_f16_e32 v19, v4, v2
	v_sub_f16_e32 v4, v4, v2
	v_add_f16_e32 v22, v6, v12
	v_sub_f16_e32 v12, v12, v5
	v_fma_f16 v10, v10, -0.5, v11
	v_fma_f16 v6, v23, -0.5, v6
	v_fma_f16 v9, v14, -0.5, v9
	v_add_f16_e32 v2, v15, v2
	v_fma_f16 v3, v19, -0.5, v3
	v_add_f16_e32 v7, v21, v7
	v_add_f16_e32 v5, v22, v5
	;; [unrolled: 1-line block ×3, first 2 shown]
	v_fma_f16 v14, v4, s2, v10
	v_fma_f16 v4, v4, s3, v10
	;; [unrolled: 1-line block ×8, first 2 shown]
	v_add_f16_e32 v12, v2, v5
	v_add_f16_e32 v19, v7, v11
	v_sub_f16_e32 v5, v2, v5
	v_sub_f16_e32 v7, v7, v11
	v_mul_f16_e32 v2, 0x3aee, v15
	v_mul_f16_e32 v11, -0.5, v6
	v_mul_f16_e32 v20, 0xbaee, v10
	v_mul_f16_e32 v21, -0.5, v9
	v_pack_b32_f16 v12, v12, v19
	v_fma_f16 v2, v10, 0.5, v2
	v_fma_f16 v9, v9, s3, v11
	v_fma_f16 v10, v15, 0.5, v20
	global_store_dword v[0:1], v12, off
	v_add_f16_e32 v11, v13, v2
	v_add_f16_e32 v12, v3, v9
	;; [unrolled: 1-line block ×3, first 2 shown]
	v_sub_f16_e32 v20, v3, v9
	v_mov_b32_e32 v9, v30
	v_sub_f16_e32 v13, v13, v2
	v_lshl_add_u64 v[0:1], v[8:9], 2, v[16:17]
	v_pack_b32_f16 v2, v11, v15
	v_add_u32_e32 v3, 0x30e, v18
	global_store_dword v[0:1], v2, off
	v_mad_u64_u32 v[0:1], s[0:1], s8, v3, 0
	v_mov_b32_e32 v2, v1
	v_fma_f16 v6, v6, s2, v21
	v_mad_u64_u32 v[2:3], s[0:1], s9, v3, v[2:3]
	v_add_f16_e32 v19, v4, v6
	v_mov_b32_e32 v1, v2
	v_lshl_add_u64 v[0:1], v[0:1], 2, v[16:17]
	v_pack_b32_f16 v2, v12, v19
	v_add_u32_e32 v3, 0x42f, v18
	global_store_dword v[0:1], v2, off
	v_mad_u64_u32 v[0:1], s[0:1], s8, v3, 0
	v_mov_b32_e32 v2, v1
	v_mad_u64_u32 v[2:3], s[0:1], s9, v3, v[2:3]
	v_mov_b32_e32 v1, v2
	v_lshl_add_u64 v[0:1], v[0:1], 2, v[16:17]
	v_pack_b32_f16 v2, v5, v7
	v_add_u32_e32 v3, 0x550, v18
	global_store_dword v[0:1], v2, off
	v_mad_u64_u32 v[0:1], s[0:1], s8, v3, 0
	v_mov_b32_e32 v2, v1
	v_mad_u64_u32 v[2:3], s[0:1], s9, v3, v[2:3]
	v_sub_f16_e32 v10, v14, v10
	v_mov_b32_e32 v1, v2
	v_lshl_add_u64 v[0:1], v[0:1], 2, v[16:17]
	v_pack_b32_f16 v2, v13, v10
	v_add_u32_e32 v3, 0x671, v18
	global_store_dword v[0:1], v2, off
	v_mad_u64_u32 v[0:1], s[0:1], s8, v3, 0
	v_mov_b32_e32 v2, v1
	v_mad_u64_u32 v[2:3], s[0:1], s9, v3, v[2:3]
	v_sub_f16_e32 v4, v4, v6
	v_mov_b32_e32 v1, v2
	v_lshl_add_u64 v[0:1], v[0:1], 2, v[16:17]
	v_pack_b32_f16 v2, v20, v4
	global_store_dword v[0:1], v2, off
.LBB0_20:
	s_endpgm
	.section	.rodata,"a",@progbits
	.p2align	6, 0x0
	.amdhsa_kernel fft_rtc_fwd_len1734_factors_17_17_6_wgs_102_tpt_102_halfLds_half_ip_CI_sbrr_dirReg
		.amdhsa_group_segment_fixed_size 0
		.amdhsa_private_segment_fixed_size 0
		.amdhsa_kernarg_size 88
		.amdhsa_user_sgpr_count 2
		.amdhsa_user_sgpr_dispatch_ptr 0
		.amdhsa_user_sgpr_queue_ptr 0
		.amdhsa_user_sgpr_kernarg_segment_ptr 1
		.amdhsa_user_sgpr_dispatch_id 0
		.amdhsa_user_sgpr_kernarg_preload_length 0
		.amdhsa_user_sgpr_kernarg_preload_offset 0
		.amdhsa_user_sgpr_private_segment_size 0
		.amdhsa_uses_dynamic_stack 0
		.amdhsa_enable_private_segment 0
		.amdhsa_system_sgpr_workgroup_id_x 1
		.amdhsa_system_sgpr_workgroup_id_y 0
		.amdhsa_system_sgpr_workgroup_id_z 0
		.amdhsa_system_sgpr_workgroup_info 0
		.amdhsa_system_vgpr_workitem_id 0
		.amdhsa_next_free_vgpr 96
		.amdhsa_next_free_sgpr 77
		.amdhsa_accum_offset 96
		.amdhsa_reserve_vcc 1
		.amdhsa_float_round_mode_32 0
		.amdhsa_float_round_mode_16_64 0
		.amdhsa_float_denorm_mode_32 3
		.amdhsa_float_denorm_mode_16_64 3
		.amdhsa_dx10_clamp 1
		.amdhsa_ieee_mode 1
		.amdhsa_fp16_overflow 0
		.amdhsa_tg_split 0
		.amdhsa_exception_fp_ieee_invalid_op 0
		.amdhsa_exception_fp_denorm_src 0
		.amdhsa_exception_fp_ieee_div_zero 0
		.amdhsa_exception_fp_ieee_overflow 0
		.amdhsa_exception_fp_ieee_underflow 0
		.amdhsa_exception_fp_ieee_inexact 0
		.amdhsa_exception_int_div_zero 0
	.end_amdhsa_kernel
	.text
.Lfunc_end0:
	.size	fft_rtc_fwd_len1734_factors_17_17_6_wgs_102_tpt_102_halfLds_half_ip_CI_sbrr_dirReg, .Lfunc_end0-fft_rtc_fwd_len1734_factors_17_17_6_wgs_102_tpt_102_halfLds_half_ip_CI_sbrr_dirReg
                                        ; -- End function
	.section	.AMDGPU.csdata,"",@progbits
; Kernel info:
; codeLenInByte = 14740
; NumSgprs: 83
; NumVgprs: 96
; NumAgprs: 0
; TotalNumVgprs: 96
; ScratchSize: 0
; MemoryBound: 0
; FloatMode: 240
; IeeeMode: 1
; LDSByteSize: 0 bytes/workgroup (compile time only)
; SGPRBlocks: 10
; VGPRBlocks: 11
; NumSGPRsForWavesPerEU: 83
; NumVGPRsForWavesPerEU: 96
; AccumOffset: 96
; Occupancy: 5
; WaveLimiterHint : 1
; COMPUTE_PGM_RSRC2:SCRATCH_EN: 0
; COMPUTE_PGM_RSRC2:USER_SGPR: 2
; COMPUTE_PGM_RSRC2:TRAP_HANDLER: 0
; COMPUTE_PGM_RSRC2:TGID_X_EN: 1
; COMPUTE_PGM_RSRC2:TGID_Y_EN: 0
; COMPUTE_PGM_RSRC2:TGID_Z_EN: 0
; COMPUTE_PGM_RSRC2:TIDIG_COMP_CNT: 0
; COMPUTE_PGM_RSRC3_GFX90A:ACCUM_OFFSET: 23
; COMPUTE_PGM_RSRC3_GFX90A:TG_SPLIT: 0
	.text
	.p2alignl 6, 3212836864
	.fill 256, 4, 3212836864
	.type	__hip_cuid_a73c90e3ca1dec41,@object ; @__hip_cuid_a73c90e3ca1dec41
	.section	.bss,"aw",@nobits
	.globl	__hip_cuid_a73c90e3ca1dec41
__hip_cuid_a73c90e3ca1dec41:
	.byte	0                               ; 0x0
	.size	__hip_cuid_a73c90e3ca1dec41, 1

	.ident	"AMD clang version 19.0.0git (https://github.com/RadeonOpenCompute/llvm-project roc-6.4.0 25133 c7fe45cf4b819c5991fe208aaa96edf142730f1d)"
	.section	".note.GNU-stack","",@progbits
	.addrsig
	.addrsig_sym __hip_cuid_a73c90e3ca1dec41
	.amdgpu_metadata
---
amdhsa.kernels:
  - .agpr_count:     0
    .args:
      - .actual_access:  read_only
        .address_space:  global
        .offset:         0
        .size:           8
        .value_kind:     global_buffer
      - .offset:         8
        .size:           8
        .value_kind:     by_value
      - .actual_access:  read_only
        .address_space:  global
        .offset:         16
        .size:           8
        .value_kind:     global_buffer
      - .actual_access:  read_only
        .address_space:  global
        .offset:         24
        .size:           8
        .value_kind:     global_buffer
      - .offset:         32
        .size:           8
        .value_kind:     by_value
      - .actual_access:  read_only
        .address_space:  global
        .offset:         40
        .size:           8
        .value_kind:     global_buffer
      - .actual_access:  read_only
        .address_space:  global
        .offset:         48
        .size:           8
        .value_kind:     global_buffer
      - .offset:         56
        .size:           4
        .value_kind:     by_value
      - .actual_access:  read_only
        .address_space:  global
        .offset:         64
        .size:           8
        .value_kind:     global_buffer
      - .actual_access:  read_only
        .address_space:  global
        .offset:         72
        .size:           8
        .value_kind:     global_buffer
      - .address_space:  global
        .offset:         80
        .size:           8
        .value_kind:     global_buffer
    .group_segment_fixed_size: 0
    .kernarg_segment_align: 8
    .kernarg_segment_size: 88
    .language:       OpenCL C
    .language_version:
      - 2
      - 0
    .max_flat_workgroup_size: 102
    .name:           fft_rtc_fwd_len1734_factors_17_17_6_wgs_102_tpt_102_halfLds_half_ip_CI_sbrr_dirReg
    .private_segment_fixed_size: 0
    .sgpr_count:     83
    .sgpr_spill_count: 0
    .symbol:         fft_rtc_fwd_len1734_factors_17_17_6_wgs_102_tpt_102_halfLds_half_ip_CI_sbrr_dirReg.kd
    .uniform_work_group_size: 1
    .uses_dynamic_stack: false
    .vgpr_count:     96
    .vgpr_spill_count: 0
    .wavefront_size: 64
amdhsa.target:   amdgcn-amd-amdhsa--gfx950
amdhsa.version:
  - 1
  - 2
...

	.end_amdgpu_metadata
